;; amdgpu-corpus repo=ROCm/rocFFT kind=compiled arch=gfx1201 opt=O3
	.text
	.amdgcn_target "amdgcn-amd-amdhsa--gfx1201"
	.amdhsa_code_object_version 6
	.protected	fft_rtc_fwd_len1911_factors_13_7_7_3_wgs_91_tpt_91_halfLds_sp_ip_CI_unitstride_sbrr_dirReg ; -- Begin function fft_rtc_fwd_len1911_factors_13_7_7_3_wgs_91_tpt_91_halfLds_sp_ip_CI_unitstride_sbrr_dirReg
	.globl	fft_rtc_fwd_len1911_factors_13_7_7_3_wgs_91_tpt_91_halfLds_sp_ip_CI_unitstride_sbrr_dirReg
	.p2align	8
	.type	fft_rtc_fwd_len1911_factors_13_7_7_3_wgs_91_tpt_91_halfLds_sp_ip_CI_unitstride_sbrr_dirReg,@function
fft_rtc_fwd_len1911_factors_13_7_7_3_wgs_91_tpt_91_halfLds_sp_ip_CI_unitstride_sbrr_dirReg: ; @fft_rtc_fwd_len1911_factors_13_7_7_3_wgs_91_tpt_91_halfLds_sp_ip_CI_unitstride_sbrr_dirReg
; %bb.0:
	s_clause 0x2
	s_load_b128 s[4:7], s[0:1], 0x0
	s_load_b64 s[8:9], s[0:1], 0x50
	s_load_b64 s[10:11], s[0:1], 0x18
	v_mul_u32_u24_e32 v1, 0x2d1, v0
	v_mov_b32_e32 v3, 0
	s_delay_alu instid0(VALU_DEP_2) | instskip(NEXT) | instid1(VALU_DEP_1)
	v_lshrrev_b32_e32 v1, 16, v1
	v_add_nc_u32_e32 v5, ttmp9, v1
	v_mov_b32_e32 v1, 0
	v_mov_b32_e32 v2, 0
	;; [unrolled: 1-line block ×3, first 2 shown]
	s_wait_kmcnt 0x0
	v_cmp_lt_u64_e64 s2, s[6:7], 2
	s_delay_alu instid0(VALU_DEP_1)
	s_and_b32 vcc_lo, exec_lo, s2
	s_cbranch_vccnz .LBB0_8
; %bb.1:
	s_load_b64 s[2:3], s[0:1], 0x10
	v_mov_b32_e32 v1, 0
	v_mov_b32_e32 v2, 0
	s_add_nc_u64 s[12:13], s[10:11], 8
	s_mov_b64 s[14:15], 1
	s_wait_kmcnt 0x0
	s_add_nc_u64 s[16:17], s[2:3], 8
	s_mov_b32 s3, 0
.LBB0_2:                                ; =>This Inner Loop Header: Depth=1
	s_load_b64 s[18:19], s[16:17], 0x0
                                        ; implicit-def: $vgpr7_vgpr8
	s_mov_b32 s2, exec_lo
	s_wait_kmcnt 0x0
	v_or_b32_e32 v4, s19, v6
	s_delay_alu instid0(VALU_DEP_1)
	v_cmpx_ne_u64_e32 0, v[3:4]
	s_wait_alu 0xfffe
	s_xor_b32 s20, exec_lo, s2
	s_cbranch_execz .LBB0_4
; %bb.3:                                ;   in Loop: Header=BB0_2 Depth=1
	s_cvt_f32_u32 s2, s18
	s_cvt_f32_u32 s21, s19
	s_sub_nc_u64 s[24:25], 0, s[18:19]
	s_wait_alu 0xfffe
	s_delay_alu instid0(SALU_CYCLE_1) | instskip(SKIP_1) | instid1(SALU_CYCLE_2)
	s_fmamk_f32 s2, s21, 0x4f800000, s2
	s_wait_alu 0xfffe
	v_s_rcp_f32 s2, s2
	s_delay_alu instid0(TRANS32_DEP_1) | instskip(SKIP_1) | instid1(SALU_CYCLE_2)
	s_mul_f32 s2, s2, 0x5f7ffffc
	s_wait_alu 0xfffe
	s_mul_f32 s21, s2, 0x2f800000
	s_wait_alu 0xfffe
	s_delay_alu instid0(SALU_CYCLE_2) | instskip(SKIP_1) | instid1(SALU_CYCLE_2)
	s_trunc_f32 s21, s21
	s_wait_alu 0xfffe
	s_fmamk_f32 s2, s21, 0xcf800000, s2
	s_cvt_u32_f32 s23, s21
	s_wait_alu 0xfffe
	s_delay_alu instid0(SALU_CYCLE_1) | instskip(SKIP_1) | instid1(SALU_CYCLE_2)
	s_cvt_u32_f32 s22, s2
	s_wait_alu 0xfffe
	s_mul_u64 s[26:27], s[24:25], s[22:23]
	s_wait_alu 0xfffe
	s_mul_hi_u32 s29, s22, s27
	s_mul_i32 s28, s22, s27
	s_mul_hi_u32 s2, s22, s26
	s_mul_i32 s30, s23, s26
	s_wait_alu 0xfffe
	s_add_nc_u64 s[28:29], s[2:3], s[28:29]
	s_mul_hi_u32 s21, s23, s26
	s_mul_hi_u32 s31, s23, s27
	s_add_co_u32 s2, s28, s30
	s_wait_alu 0xfffe
	s_add_co_ci_u32 s2, s29, s21
	s_mul_i32 s26, s23, s27
	s_add_co_ci_u32 s27, s31, 0
	s_wait_alu 0xfffe
	s_add_nc_u64 s[26:27], s[2:3], s[26:27]
	s_wait_alu 0xfffe
	v_add_co_u32 v4, s2, s22, s26
	s_delay_alu instid0(VALU_DEP_1) | instskip(SKIP_1) | instid1(VALU_DEP_1)
	s_cmp_lg_u32 s2, 0
	s_add_co_ci_u32 s23, s23, s27
	v_readfirstlane_b32 s22, v4
	s_wait_alu 0xfffe
	s_delay_alu instid0(VALU_DEP_1)
	s_mul_u64 s[24:25], s[24:25], s[22:23]
	s_wait_alu 0xfffe
	s_mul_hi_u32 s27, s22, s25
	s_mul_i32 s26, s22, s25
	s_mul_hi_u32 s2, s22, s24
	s_mul_i32 s28, s23, s24
	s_wait_alu 0xfffe
	s_add_nc_u64 s[26:27], s[2:3], s[26:27]
	s_mul_hi_u32 s21, s23, s24
	s_mul_hi_u32 s22, s23, s25
	s_wait_alu 0xfffe
	s_add_co_u32 s2, s26, s28
	s_add_co_ci_u32 s2, s27, s21
	s_mul_i32 s24, s23, s25
	s_add_co_ci_u32 s25, s22, 0
	s_wait_alu 0xfffe
	s_add_nc_u64 s[24:25], s[2:3], s[24:25]
	s_wait_alu 0xfffe
	v_add_co_u32 v4, s2, v4, s24
	s_delay_alu instid0(VALU_DEP_1) | instskip(SKIP_1) | instid1(VALU_DEP_1)
	s_cmp_lg_u32 s2, 0
	s_add_co_ci_u32 s2, s23, s25
	v_mul_hi_u32 v13, v5, v4
	s_wait_alu 0xfffe
	v_mad_co_u64_u32 v[7:8], null, v5, s2, 0
	v_mad_co_u64_u32 v[9:10], null, v6, v4, 0
	;; [unrolled: 1-line block ×3, first 2 shown]
	s_delay_alu instid0(VALU_DEP_3) | instskip(SKIP_1) | instid1(VALU_DEP_4)
	v_add_co_u32 v4, vcc_lo, v13, v7
	s_wait_alu 0xfffd
	v_add_co_ci_u32_e32 v7, vcc_lo, 0, v8, vcc_lo
	s_delay_alu instid0(VALU_DEP_2) | instskip(SKIP_1) | instid1(VALU_DEP_2)
	v_add_co_u32 v4, vcc_lo, v4, v9
	s_wait_alu 0xfffd
	v_add_co_ci_u32_e32 v4, vcc_lo, v7, v10, vcc_lo
	s_wait_alu 0xfffd
	v_add_co_ci_u32_e32 v7, vcc_lo, 0, v12, vcc_lo
	s_delay_alu instid0(VALU_DEP_2) | instskip(SKIP_1) | instid1(VALU_DEP_2)
	v_add_co_u32 v4, vcc_lo, v4, v11
	s_wait_alu 0xfffd
	v_add_co_ci_u32_e32 v9, vcc_lo, 0, v7, vcc_lo
	s_delay_alu instid0(VALU_DEP_2) | instskip(SKIP_1) | instid1(VALU_DEP_3)
	v_mul_lo_u32 v10, s19, v4
	v_mad_co_u64_u32 v[7:8], null, s18, v4, 0
	v_mul_lo_u32 v11, s18, v9
	s_delay_alu instid0(VALU_DEP_2) | instskip(NEXT) | instid1(VALU_DEP_2)
	v_sub_co_u32 v7, vcc_lo, v5, v7
	v_add3_u32 v8, v8, v11, v10
	s_delay_alu instid0(VALU_DEP_1) | instskip(SKIP_1) | instid1(VALU_DEP_1)
	v_sub_nc_u32_e32 v10, v6, v8
	s_wait_alu 0xfffd
	v_subrev_co_ci_u32_e64 v10, s2, s19, v10, vcc_lo
	v_add_co_u32 v11, s2, v4, 2
	s_wait_alu 0xf1ff
	v_add_co_ci_u32_e64 v12, s2, 0, v9, s2
	v_sub_co_u32 v13, s2, v7, s18
	v_sub_co_ci_u32_e32 v8, vcc_lo, v6, v8, vcc_lo
	s_wait_alu 0xf1ff
	v_subrev_co_ci_u32_e64 v10, s2, 0, v10, s2
	s_delay_alu instid0(VALU_DEP_3) | instskip(NEXT) | instid1(VALU_DEP_3)
	v_cmp_le_u32_e32 vcc_lo, s18, v13
	v_cmp_eq_u32_e64 s2, s19, v8
	s_wait_alu 0xfffd
	v_cndmask_b32_e64 v13, 0, -1, vcc_lo
	v_cmp_le_u32_e32 vcc_lo, s19, v10
	s_wait_alu 0xfffd
	v_cndmask_b32_e64 v14, 0, -1, vcc_lo
	v_cmp_le_u32_e32 vcc_lo, s18, v7
	;; [unrolled: 3-line block ×3, first 2 shown]
	s_wait_alu 0xfffd
	v_cndmask_b32_e64 v15, 0, -1, vcc_lo
	v_cmp_eq_u32_e32 vcc_lo, s19, v10
	s_wait_alu 0xf1ff
	s_delay_alu instid0(VALU_DEP_2)
	v_cndmask_b32_e64 v7, v15, v7, s2
	s_wait_alu 0xfffd
	v_cndmask_b32_e32 v10, v14, v13, vcc_lo
	v_add_co_u32 v13, vcc_lo, v4, 1
	s_wait_alu 0xfffd
	v_add_co_ci_u32_e32 v14, vcc_lo, 0, v9, vcc_lo
	s_delay_alu instid0(VALU_DEP_3) | instskip(SKIP_2) | instid1(VALU_DEP_3)
	v_cmp_ne_u32_e32 vcc_lo, 0, v10
	s_wait_alu 0xfffd
	v_cndmask_b32_e32 v10, v13, v11, vcc_lo
	v_cndmask_b32_e32 v8, v14, v12, vcc_lo
	v_cmp_ne_u32_e32 vcc_lo, 0, v7
	s_wait_alu 0xfffd
	s_delay_alu instid0(VALU_DEP_2)
	v_dual_cndmask_b32 v7, v4, v10 :: v_dual_cndmask_b32 v8, v9, v8
.LBB0_4:                                ;   in Loop: Header=BB0_2 Depth=1
	s_wait_alu 0xfffe
	s_and_not1_saveexec_b32 s2, s20
	s_cbranch_execz .LBB0_6
; %bb.5:                                ;   in Loop: Header=BB0_2 Depth=1
	v_cvt_f32_u32_e32 v4, s18
	s_sub_co_i32 s20, 0, s18
	s_delay_alu instid0(VALU_DEP_1) | instskip(NEXT) | instid1(TRANS32_DEP_1)
	v_rcp_iflag_f32_e32 v4, v4
	v_mul_f32_e32 v4, 0x4f7ffffe, v4
	s_delay_alu instid0(VALU_DEP_1) | instskip(SKIP_1) | instid1(VALU_DEP_1)
	v_cvt_u32_f32_e32 v4, v4
	s_wait_alu 0xfffe
	v_mul_lo_u32 v7, s20, v4
	s_delay_alu instid0(VALU_DEP_1) | instskip(NEXT) | instid1(VALU_DEP_1)
	v_mul_hi_u32 v7, v4, v7
	v_add_nc_u32_e32 v4, v4, v7
	s_delay_alu instid0(VALU_DEP_1) | instskip(NEXT) | instid1(VALU_DEP_1)
	v_mul_hi_u32 v4, v5, v4
	v_mul_lo_u32 v7, v4, s18
	v_add_nc_u32_e32 v8, 1, v4
	s_delay_alu instid0(VALU_DEP_2) | instskip(NEXT) | instid1(VALU_DEP_1)
	v_sub_nc_u32_e32 v7, v5, v7
	v_subrev_nc_u32_e32 v9, s18, v7
	v_cmp_le_u32_e32 vcc_lo, s18, v7
	s_wait_alu 0xfffd
	s_delay_alu instid0(VALU_DEP_2) | instskip(NEXT) | instid1(VALU_DEP_1)
	v_dual_cndmask_b32 v7, v7, v9 :: v_dual_cndmask_b32 v4, v4, v8
	v_cmp_le_u32_e32 vcc_lo, s18, v7
	s_delay_alu instid0(VALU_DEP_2) | instskip(SKIP_1) | instid1(VALU_DEP_1)
	v_add_nc_u32_e32 v8, 1, v4
	s_wait_alu 0xfffd
	v_dual_cndmask_b32 v7, v4, v8 :: v_dual_mov_b32 v8, v3
.LBB0_6:                                ;   in Loop: Header=BB0_2 Depth=1
	s_wait_alu 0xfffe
	s_or_b32 exec_lo, exec_lo, s2
	s_load_b64 s[20:21], s[12:13], 0x0
	s_delay_alu instid0(VALU_DEP_1)
	v_mul_lo_u32 v4, v8, s18
	v_mul_lo_u32 v11, v7, s19
	v_mad_co_u64_u32 v[9:10], null, v7, s18, 0
	s_add_nc_u64 s[14:15], s[14:15], 1
	s_add_nc_u64 s[12:13], s[12:13], 8
	s_wait_alu 0xfffe
	v_cmp_ge_u64_e64 s2, s[14:15], s[6:7]
	s_add_nc_u64 s[16:17], s[16:17], 8
	s_delay_alu instid0(VALU_DEP_2) | instskip(NEXT) | instid1(VALU_DEP_3)
	v_add3_u32 v4, v10, v11, v4
	v_sub_co_u32 v5, vcc_lo, v5, v9
	s_wait_alu 0xfffd
	s_delay_alu instid0(VALU_DEP_2) | instskip(SKIP_3) | instid1(VALU_DEP_2)
	v_sub_co_ci_u32_e32 v4, vcc_lo, v6, v4, vcc_lo
	s_and_b32 vcc_lo, exec_lo, s2
	s_wait_kmcnt 0x0
	v_mul_lo_u32 v6, s21, v5
	v_mul_lo_u32 v4, s20, v4
	v_mad_co_u64_u32 v[1:2], null, s20, v5, v[1:2]
	s_delay_alu instid0(VALU_DEP_1)
	v_add3_u32 v2, v6, v2, v4
	s_wait_alu 0xfffe
	s_cbranch_vccnz .LBB0_9
; %bb.7:                                ;   in Loop: Header=BB0_2 Depth=1
	v_dual_mov_b32 v5, v7 :: v_dual_mov_b32 v6, v8
	s_branch .LBB0_2
.LBB0_8:
	v_dual_mov_b32 v8, v6 :: v_dual_mov_b32 v7, v5
.LBB0_9:
	s_lshl_b64 s[2:3], s[6:7], 3
	v_mul_hi_u32 v3, 0x2d02d03, v0
	s_wait_alu 0xfffe
	s_add_nc_u64 s[2:3], s[10:11], s[2:3]
	v_mov_b32_e32 v15, 0
	s_load_b64 s[2:3], s[2:3], 0x0
	s_load_b64 s[0:1], s[0:1], 0x20
                                        ; implicit-def: $vgpr45
                                        ; implicit-def: $vgpr55
                                        ; implicit-def: $vgpr53
                                        ; implicit-def: $vgpr43
                                        ; implicit-def: $vgpr39
                                        ; implicit-def: $vgpr35
                                        ; implicit-def: $vgpr31
                                        ; implicit-def: $vgpr33
                                        ; implicit-def: $vgpr37
                                        ; implicit-def: $vgpr41
                                        ; implicit-def: $vgpr49
                                        ; implicit-def: $vgpr29
                                        ; implicit-def: $vgpr27
                                        ; implicit-def: $vgpr19
                                        ; implicit-def: $vgpr13
                                        ; implicit-def: $vgpr9
                                        ; implicit-def: $vgpr23
                                        ; implicit-def: $vgpr25
                                        ; implicit-def: $vgpr21
                                        ; implicit-def: $vgpr17
                                        ; implicit-def: $vgpr11
                                        ; implicit-def: $vgpr51
                                        ; implicit-def: $vgpr47
	s_delay_alu instid0(VALU_DEP_2) | instskip(NEXT) | instid1(VALU_DEP_1)
	v_mul_u32_u24_e32 v3, 0x5b, v3
	v_sub_nc_u32_e32 v0, v0, v3
	s_wait_kmcnt 0x0
	v_mul_lo_u32 v4, s2, v8
	v_mul_lo_u32 v5, s3, v7
	v_mad_co_u64_u32 v[1:2], null, s2, v7, v[1:2]
	v_cmp_gt_u64_e32 vcc_lo, s[0:1], v[7:8]
                                        ; implicit-def: $vgpr7
	s_delay_alu instid0(VALU_DEP_2) | instskip(NEXT) | instid1(VALU_DEP_1)
	v_add3_u32 v2, v5, v2, v4
                                        ; implicit-def: $vgpr5
	v_lshlrev_b64_e32 v[2:3], 3, v[1:2]
	v_mov_b32_e32 v1, 0
	s_and_saveexec_b32 s1, vcc_lo
	s_cbranch_execz .LBB0_13
; %bb.10:
	v_mov_b32_e32 v1, 0
	s_delay_alu instid0(VALU_DEP_3) | instskip(SKIP_2) | instid1(VALU_DEP_3)
	v_add_co_u32 v6, s0, s8, v2
	s_wait_alu 0xf1ff
	v_add_co_ci_u32_e64 v7, s0, s9, v3, s0
	v_lshlrev_b64_e32 v[4:5], 3, v[0:1]
	v_mov_b32_e32 v15, v1
	s_mov_b32 s2, exec_lo
                                        ; implicit-def: $vgpr10
                                        ; implicit-def: $vgpr16
                                        ; implicit-def: $vgpr20
                                        ; implicit-def: $vgpr24
                                        ; implicit-def: $vgpr22
                                        ; implicit-def: $vgpr8
                                        ; implicit-def: $vgpr12
                                        ; implicit-def: $vgpr18
                                        ; implicit-def: $vgpr26
                                        ; implicit-def: $vgpr28
	s_delay_alu instid0(VALU_DEP_2) | instskip(SKIP_1) | instid1(VALU_DEP_3)
	v_add_co_u32 v56, s0, v6, v4
	s_wait_alu 0xf1ff
	v_add_co_ci_u32_e64 v57, s0, v7, v5, s0
                                        ; implicit-def: $vgpr6
                                        ; implicit-def: $vgpr4
	s_clause 0xc
	global_load_b64 v[44:45], v[56:57], off
	global_load_b64 v[54:55], v[56:57], off offset:1176
	global_load_b64 v[52:53], v[56:57], off offset:2352
	;; [unrolled: 1-line block ×12, first 2 shown]
	v_cmpx_gt_u32_e32 56, v0
	s_cbranch_execz .LBB0_12
; %bb.11:
	s_clause 0xc
	global_load_b64 v[14:15], v[56:57], off offset:728
	global_load_b64 v[28:29], v[56:57], off offset:1904
	;; [unrolled: 1-line block ×13, first 2 shown]
	s_wait_loadcnt 0xc
	v_mov_b32_e32 v1, v14
.LBB0_12:
	s_wait_alu 0xfffe
	s_or_b32 exec_lo, exec_lo, s2
.LBB0_13:
	s_wait_alu 0xfffe
	s_or_b32 exec_lo, exec_lo, s1
	s_wait_loadcnt 0x0
	v_dual_add_f32 v56, v50, v54 :: v_dual_sub_f32 v59, v53, v49
	v_dual_add_f32 v14, v44, v54 :: v_dual_sub_f32 v57, v55, v51
	v_cmp_gt_u32_e64 s0, 56, v0
	s_delay_alu instid0(VALU_DEP_3) | instskip(SKIP_1) | instid1(VALU_DEP_2)
	v_mul_f32_e32 v61, 0x3f116cb1, v56
	v_mul_f32_e32 v62, 0x3df6dbef, v56
	v_fmamk_f32 v70, v57, 0x3f52af12, v61
	v_fmac_f32_e32 v61, 0xbf52af12, v57
	s_delay_alu instid0(VALU_DEP_3) | instskip(NEXT) | instid1(VALU_DEP_2)
	v_fmamk_f32 v71, v57, 0x3f7e222b, v62
	v_add_f32_e32 v61, v61, v44
	v_mul_f32_e32 v60, 0x3f62ad3f, v56
	v_add_f32_e32 v58, v52, v48
	s_delay_alu instid0(VALU_DEP_4) | instskip(NEXT) | instid1(VALU_DEP_3)
	v_add_f32_e32 v71, v71, v44
	v_dual_fmamk_f32 v69, v57, 0x3eedf032, v60 :: v_dual_add_f32 v14, v14, v52
	s_delay_alu instid0(VALU_DEP_3) | instskip(SKIP_1) | instid1(VALU_DEP_3)
	v_mul_f32_e32 v65, 0x3f116cb1, v58
	v_dual_mul_f32 v63, 0xbeb58ec6, v56 :: v_dual_mul_f32 v66, 0xbeb58ec6, v58
	v_dual_mul_f32 v68, 0xbf3f9e67, v58 :: v_dual_add_f32 v69, v69, v44
	s_delay_alu instid0(VALU_DEP_4) | instskip(NEXT) | instid1(VALU_DEP_3)
	v_add_f32_e32 v14, v14, v42
	v_dual_fmamk_f32 v72, v57, 0x3f6f5d39, v63 :: v_dual_fmamk_f32 v75, v59, 0x3f6f5d39, v66
	v_dual_fmac_f32 v63, 0xbf6f5d39, v57 :: v_dual_fmac_f32 v66, 0xbf6f5d39, v59
	s_delay_alu instid0(VALU_DEP_3) | instskip(NEXT) | instid1(VALU_DEP_3)
	v_add_f32_e32 v14, v14, v38
	v_dual_add_f32 v72, v72, v44 :: v_dual_mul_f32 v67, 0xbf788fa5, v58
	s_delay_alu instid0(VALU_DEP_3) | instskip(NEXT) | instid1(VALU_DEP_4)
	v_add_f32_e32 v63, v63, v44
	v_add_f32_e32 v61, v66, v61
	s_delay_alu instid0(VALU_DEP_4)
	v_add_f32_e32 v14, v14, v34
	v_fmamk_f32 v66, v59, 0xbf29c268, v68
	v_fmac_f32_e32 v68, 0x3f29c268, v59
	v_mul_f32_e32 v64, 0xbf3f9e67, v56
	v_mul_f32_e32 v56, 0xbf788fa5, v56
	v_add_f32_e32 v14, v14, v30
	s_delay_alu instid0(VALU_DEP_4) | instskip(NEXT) | instid1(VALU_DEP_4)
	v_dual_fmac_f32 v60, 0xbeedf032, v57 :: v_dual_add_f32 v63, v68, v63
	v_fmamk_f32 v73, v57, 0x3f29c268, v64
	s_delay_alu instid0(VALU_DEP_4) | instskip(NEXT) | instid1(VALU_DEP_4)
	v_fmamk_f32 v74, v57, 0x3e750f2a, v56
	v_add_f32_e32 v14, v14, v32
	v_fmac_f32_e32 v62, 0xbf7e222b, v57
	v_fmac_f32_e32 v56, 0xbe750f2a, v57
	v_add_f32_e32 v60, v60, v44
	v_fmac_f32_e32 v64, 0xbf29c268, v57
	v_dual_fmamk_f32 v57, v59, 0x3f52af12, v65 :: v_dual_add_f32 v14, v14, v36
	v_dual_fmac_f32 v65, 0xbf52af12, v59 :: v_dual_add_f32 v70, v70, v44
	v_add_f32_e32 v73, v73, v44
	v_add_f32_e32 v62, v62, v44
	s_delay_alu instid0(VALU_DEP_4)
	v_add_f32_e32 v14, v14, v40
	v_add_f32_e32 v64, v64, v44
	;; [unrolled: 1-line block ×4, first 2 shown]
	v_dual_add_f32 v56, v57, v69 :: v_dual_mul_f32 v69, 0x3df6dbef, v58
	v_add_f32_e32 v57, v65, v60
	v_fmamk_f32 v65, v59, 0x3e750f2a, v67
	v_fmac_f32_e32 v67, 0xbe750f2a, v59
	v_mul_f32_e32 v58, 0x3f62ad3f, v58
	v_fmamk_f32 v68, v59, 0xbf7e222b, v69
	v_dual_fmac_f32 v69, 0x3f7e222b, v59 :: v_dual_add_f32 v60, v75, v70
	s_delay_alu instid0(VALU_DEP_4) | instskip(SKIP_4) | instid1(VALU_DEP_4)
	v_add_f32_e32 v62, v67, v62
	v_add_f32_e32 v67, v46, v42
	;; [unrolled: 1-line block ×3, first 2 shown]
	v_sub_f32_e32 v70, v43, v47
	v_add_f32_e32 v14, v14, v46
	v_dual_add_f32 v66, v66, v72 :: v_dual_mul_f32 v71, 0x3df6dbef, v67
	v_fmamk_f32 v72, v59, 0xbeedf032, v58
	v_dual_fmac_f32 v58, 0x3eedf032, v59 :: v_dual_add_f32 v59, v69, v64
	v_mul_f32_e32 v69, 0xbf788fa5, v67
	s_delay_alu instid0(VALU_DEP_4) | instskip(SKIP_1) | instid1(VALU_DEP_1)
	v_fmamk_f32 v64, v70, 0x3f7e222b, v71
	v_dual_fmac_f32 v71, 0xbf7e222b, v70 :: v_dual_add_f32 v14, v14, v48
	v_add_f32_e32 v57, v57, v71
	v_dual_mul_f32 v71, 0x3f62ad3f, v67 :: v_dual_add_f32 v44, v58, v44
	v_fmamk_f32 v58, v70, 0x3e750f2a, v69
	v_fmac_f32_e32 v69, 0xbe750f2a, v70
	s_delay_alu instid0(VALU_DEP_1) | instskip(NEXT) | instid1(VALU_DEP_4)
	v_dual_add_f32 v14, v50, v14 :: v_dual_add_f32 v61, v61, v69
	v_dual_fmamk_f32 v69, v70, 0xbeedf032, v71 :: v_dual_add_f32 v56, v56, v64
	v_mul_f32_e32 v64, 0xbeb58ec6, v67
	v_fmac_f32_e32 v71, 0x3eedf032, v70
	s_delay_alu instid0(VALU_DEP_1) | instskip(SKIP_1) | instid1(VALU_DEP_4)
	v_add_f32_e32 v63, v63, v71
	v_dual_sub_f32 v71, v39, v41 :: v_dual_add_f32 v58, v60, v58
	v_fmamk_f32 v60, v70, 0xbf6f5d39, v64
	v_fmac_f32_e32 v64, 0x3f6f5d39, v70
	s_delay_alu instid0(VALU_DEP_2) | instskip(NEXT) | instid1(VALU_DEP_2)
	v_dual_add_f32 v60, v65, v60 :: v_dual_mul_f32 v65, 0x3f116cb1, v67
	v_add_f32_e32 v62, v62, v64
	v_add_f32_e32 v64, v66, v69
	v_add_f32_e32 v66, v38, v40
	v_dual_add_f32 v68, v68, v73 :: v_dual_mul_f32 v67, 0xbf3f9e67, v67
	s_delay_alu instid0(VALU_DEP_2) | instskip(SKIP_1) | instid1(VALU_DEP_1)
	v_mul_f32_e32 v73, 0xbeb58ec6, v66
	v_fmamk_f32 v69, v70, 0x3f52af12, v65
	v_dual_fmac_f32 v65, 0xbf52af12, v70 :: v_dual_add_f32 v68, v68, v69
	s_delay_alu instid0(VALU_DEP_1) | instskip(NEXT) | instid1(VALU_DEP_4)
	v_add_f32_e32 v59, v59, v65
	v_fmamk_f32 v65, v71, 0x3f6f5d39, v73
	v_fmac_f32_e32 v73, 0xbf6f5d39, v71
	v_fmamk_f32 v69, v70, 0x3f29c268, v67
	v_fmac_f32_e32 v67, 0xbf29c268, v70
	v_mul_f32_e32 v70, 0xbf3f9e67, v66
	v_add_f32_e32 v56, v65, v56
	v_dual_add_f32 v57, v73, v57 :: v_dual_add_f32 v72, v72, v74
	s_delay_alu instid0(VALU_DEP_3) | instskip(NEXT) | instid1(VALU_DEP_2)
	v_fmamk_f32 v65, v71, 0xbf29c268, v70
	v_add_f32_e32 v69, v72, v69
	v_dual_add_f32 v44, v44, v67 :: v_dual_mul_f32 v67, 0x3f62ad3f, v66
	s_delay_alu instid0(VALU_DEP_1) | instskip(SKIP_2) | instid1(VALU_DEP_2)
	v_dual_add_f32 v58, v65, v58 :: v_dual_fmamk_f32 v65, v71, 0xbeedf032, v67
	v_fmac_f32_e32 v67, 0x3eedf032, v71
	v_mul_f32_e32 v72, 0x3df6dbef, v66
	v_dual_add_f32 v62, v67, v62 :: v_dual_add_f32 v67, v34, v36
	s_delay_alu instid0(VALU_DEP_4) | instskip(NEXT) | instid1(VALU_DEP_2)
	v_dual_add_f32 v60, v65, v60 :: v_dual_mul_f32 v65, 0xbf788fa5, v66
	v_mul_f32_e32 v73, 0xbf3f9e67, v67
	v_fmac_f32_e32 v70, 0x3f29c268, v71
	s_delay_alu instid0(VALU_DEP_1) | instskip(SKIP_1) | instid1(VALU_DEP_1)
	v_dual_add_f32 v61, v70, v61 :: v_dual_fmamk_f32 v70, v71, 0x3f7e222b, v72
	v_fmac_f32_e32 v72, 0xbf7e222b, v71
	v_dual_add_f32 v63, v72, v63 :: v_dual_sub_f32 v72, v35, v37
	s_delay_alu instid0(VALU_DEP_3) | instskip(SKIP_2) | instid1(VALU_DEP_1)
	v_add_f32_e32 v64, v70, v64
	v_fmamk_f32 v70, v71, 0xbe750f2a, v65
	v_fmac_f32_e32 v65, 0x3e750f2a, v71
	v_dual_mul_f32 v66, 0x3f116cb1, v66 :: v_dual_add_f32 v59, v65, v59
	v_fmamk_f32 v65, v72, 0x3f29c268, v73
	v_fmac_f32_e32 v73, 0xbf29c268, v72
	s_delay_alu instid0(VALU_DEP_1) | instskip(NEXT) | instid1(VALU_DEP_3)
	v_add_f32_e32 v57, v73, v57
	v_dual_add_f32 v56, v65, v56 :: v_dual_mul_f32 v65, 0x3f116cb1, v67
	v_fmamk_f32 v74, v71, 0xbf52af12, v66
	v_fmac_f32_e32 v66, 0x3f52af12, v71
	v_mul_f32_e32 v71, 0xbf788fa5, v67
	s_delay_alu instid0(VALU_DEP_4) | instskip(SKIP_1) | instid1(VALU_DEP_2)
	v_fmamk_f32 v73, v72, 0x3f52af12, v65
	v_fmac_f32_e32 v65, 0xbf52af12, v72
	v_dual_add_f32 v69, v74, v69 :: v_dual_add_f32 v60, v73, v60
	s_delay_alu instid0(VALU_DEP_2) | instskip(SKIP_3) | instid1(VALU_DEP_2)
	v_dual_add_f32 v62, v65, v62 :: v_dual_mul_f32 v65, 0x3f62ad3f, v67
	v_add_f32_e32 v68, v70, v68
	v_dual_mul_f32 v70, 0x3df6dbef, v67 :: v_dual_sub_f32 v73, v31, v33
	v_add_f32_e32 v44, v66, v44
	v_fmamk_f32 v66, v72, 0xbf7e222b, v70
	s_delay_alu instid0(VALU_DEP_1) | instskip(SKIP_2) | instid1(VALU_DEP_2)
	v_add_f32_e32 v58, v66, v58
	v_fmamk_f32 v66, v72, 0xbe750f2a, v71
	v_fmac_f32_e32 v71, 0x3e750f2a, v72
	v_add_f32_e32 v64, v66, v64
	v_mul_f32_e32 v66, 0xbeb58ec6, v67
	s_delay_alu instid0(VALU_DEP_3) | instskip(SKIP_1) | instid1(VALU_DEP_3)
	v_dual_add_f32 v63, v71, v63 :: v_dual_fmac_f32 v70, 0x3f7e222b, v72
	v_add_f32_e32 v67, v30, v32
	v_fmamk_f32 v71, v72, 0x3f6f5d39, v66
	s_delay_alu instid0(VALU_DEP_3) | instskip(SKIP_4) | instid1(VALU_DEP_3)
	v_dual_fmac_f32 v66, 0xbf6f5d39, v72 :: v_dual_add_f32 v61, v70, v61
	v_fmamk_f32 v70, v72, 0xbeedf032, v65
	v_fmac_f32_e32 v65, 0x3eedf032, v72
	v_mul_f32_e32 v74, 0xbf788fa5, v67
	v_mul_f32_e32 v72, 0x3f116cb1, v67
	v_add_f32_e32 v59, v65, v59
	v_add_f32_e32 v65, v71, v69
	s_delay_alu instid0(VALU_DEP_4) | instskip(SKIP_3) | instid1(VALU_DEP_3)
	v_dual_fmamk_f32 v69, v73, 0x3e750f2a, v74 :: v_dual_add_f32 v44, v66, v44
	v_fmac_f32_e32 v74, 0xbe750f2a, v73
	v_mul_f32_e32 v66, 0xbf3f9e67, v67
	v_add_f32_e32 v68, v70, v68
	v_dual_mul_f32 v70, 0x3f62ad3f, v67 :: v_dual_add_f32 v57, v74, v57
	s_delay_alu instid0(VALU_DEP_3) | instskip(SKIP_1) | instid1(VALU_DEP_3)
	v_fmamk_f32 v71, v73, 0x3f29c268, v66
	v_add_f32_e32 v56, v69, v56
	v_fmamk_f32 v69, v73, 0xbeedf032, v70
	v_fmac_f32_e32 v70, 0x3eedf032, v73
	v_fmac_f32_e32 v66, 0xbf29c268, v73
	s_delay_alu instid0(VALU_DEP_2) | instskip(SKIP_2) | instid1(VALU_DEP_4)
	v_dual_add_f32 v58, v69, v58 :: v_dual_add_f32 v61, v70, v61
	v_dual_add_f32 v69, v71, v60 :: v_dual_fmamk_f32 v60, v73, 0xbf52af12, v72
	v_mul_f32_e32 v70, 0xbeb58ec6, v67
	v_add_f32_e32 v62, v66, v62
	v_mul_f32_e32 v66, 0x3df6dbef, v67
	v_fmac_f32_e32 v72, 0x3f52af12, v73
	v_add_f32_e32 v64, v60, v64
	v_fmamk_f32 v60, v73, 0x3f6f5d39, v70
	v_fmac_f32_e32 v70, 0xbf6f5d39, v73
	v_fmamk_f32 v67, v73, 0xbf7e222b, v66
	v_dual_fmac_f32 v66, 0x3f7e222b, v73 :: v_dual_add_f32 v63, v72, v63
	s_delay_alu instid0(VALU_DEP_4) | instskip(SKIP_1) | instid1(VALU_DEP_3)
	v_add_f32_e32 v68, v60, v68
	v_mad_u32_u24 v60, v0, 52, 0
	v_dual_add_f32 v65, v67, v65 :: v_dual_add_f32 v44, v66, v44
	v_add_f32_e32 v59, v70, v59
	ds_store_2addr_b32 v60, v14, v56 offset1:1
	ds_store_2addr_b32 v60, v58, v69 offset0:2 offset1:3
	ds_store_2addr_b32 v60, v64, v68 offset0:4 offset1:5
	ds_store_2addr_b32 v60, v65, v44 offset0:6 offset1:7
	ds_store_2addr_b32 v60, v59, v63 offset0:8 offset1:9
	ds_store_2addr_b32 v60, v62, v61 offset0:10 offset1:11
	ds_store_b32 v60, v57 offset:48
	s_and_saveexec_b32 s1, s0
	s_cbranch_execz .LBB0_15
; %bb.14:
	v_dual_sub_f32 v14, v29, v23 :: v_dual_sub_f32 v57, v27, v25
	v_dual_add_f32 v44, v28, v22 :: v_dual_sub_f32 v61, v19, v21
	s_delay_alu instid0(VALU_DEP_2) | instskip(SKIP_2) | instid1(VALU_DEP_3)
	v_dual_add_f32 v56, v26, v24 :: v_dual_mul_f32 v59, 0xbe750f2a, v14
	v_dual_add_f32 v58, v18, v20 :: v_dual_sub_f32 v63, v13, v17
	v_dual_add_f32 v62, v12, v16 :: v_dual_sub_f32 v67, v9, v11
	v_fmamk_f32 v65, v44, 0xbf788fa5, v59
	s_delay_alu instid0(VALU_DEP_3) | instskip(SKIP_2) | instid1(VALU_DEP_4)
	v_dual_add_f32 v70, v4, v6 :: v_dual_mul_f32 v71, 0x3f52af12, v63
	v_fma_f32 v59, 0xbf788fa5, v44, -v59
	v_mul_f32_e32 v64, 0x3eedf032, v57
	v_dual_add_f32 v66, v8, v10 :: v_dual_add_f32 v65, v1, v65
	s_delay_alu instid0(VALU_DEP_4) | instskip(NEXT) | instid1(VALU_DEP_4)
	v_fmamk_f32 v73, v62, 0x3f116cb1, v71
	v_add_f32_e32 v59, v1, v59
	s_delay_alu instid0(VALU_DEP_4)
	v_fmamk_f32 v69, v56, 0x3f62ad3f, v64
	v_fma_f32 v64, 0x3f62ad3f, v56, -v64
	v_fma_f32 v71, 0x3f116cb1, v62, -v71
	v_mul_f32_e32 v78, 0x3eedf032, v61
	v_mul_f32_e32 v82, 0xbe750f2a, v61
	v_add_f32_e32 v65, v65, v69
	v_mul_f32_e32 v69, 0xbf6f5d39, v67
	v_dual_add_f32 v59, v59, v64 :: v_dual_mul_f32 v76, 0xbf52af12, v61
	v_mul_f32_e32 v80, 0x3f6f5d39, v61
	s_delay_alu instid0(VALU_DEP_3) | instskip(SKIP_2) | instid1(VALU_DEP_2)
	v_fmamk_f32 v74, v66, 0xbeb58ec6, v69
	v_mul_f32_e32 v68, 0xbf29c268, v61
	v_mul_f32_e32 v61, 0xbf7e222b, v61
	v_fmamk_f32 v72, v58, 0xbf3f9e67, v68
	s_delay_alu instid0(VALU_DEP_1) | instskip(SKIP_2) | instid1(VALU_DEP_2)
	v_add_f32_e32 v65, v65, v72
	v_sub_f32_e32 v72, v5, v7
	v_fma_f32 v68, 0xbf3f9e67, v58, -v68
	v_dual_add_f32 v64, v65, v73 :: v_dual_mul_f32 v73, 0x3f7e222b, v72
	s_delay_alu instid0(VALU_DEP_1) | instskip(SKIP_1) | instid1(VALU_DEP_3)
	v_add_f32_e32 v64, v64, v74
	v_mul_f32_e32 v74, 0x3f7e222b, v57
	v_fmamk_f32 v75, v70, 0x3df6dbef, v73
	v_mul_f32_e32 v65, 0xbf29c268, v14
	v_fma_f32 v69, 0xbeb58ec6, v66, -v69
	v_fma_f32 v73, 0x3df6dbef, v70, -v73
	s_delay_alu instid0(VALU_DEP_4) | instskip(NEXT) | instid1(VALU_DEP_4)
	v_dual_add_f32 v64, v64, v75 :: v_dual_add_f32 v59, v59, v68
	v_fmamk_f32 v68, v44, 0xbf3f9e67, v65
	v_fma_f32 v65, 0xbf3f9e67, v44, -v65
	s_delay_alu instid0(VALU_DEP_2) | instskip(SKIP_1) | instid1(VALU_DEP_3)
	v_dual_add_f32 v59, v59, v71 :: v_dual_add_f32 v68, v1, v68
	v_fmamk_f32 v71, v56, 0x3df6dbef, v74
	v_add_f32_e32 v65, v1, v65
	v_fma_f32 v74, 0x3df6dbef, v56, -v74
	s_delay_alu instid0(VALU_DEP_4) | instskip(NEXT) | instid1(VALU_DEP_4)
	v_add_f32_e32 v59, v59, v69
	v_dual_fmamk_f32 v69, v58, 0x3f116cb1, v76 :: v_dual_add_f32 v68, v68, v71
	s_delay_alu instid0(VALU_DEP_1) | instskip(NEXT) | instid1(VALU_DEP_1)
	v_dual_mul_f32 v71, 0x3e750f2a, v63 :: v_dual_add_f32 v68, v68, v69
	v_fmamk_f32 v69, v62, 0xbf788fa5, v71
	v_mul_f32_e32 v75, 0x3eedf032, v67
	v_fma_f32 v71, 0xbf788fa5, v62, -v71
	s_delay_alu instid0(VALU_DEP_2)
	v_dual_add_f32 v68, v68, v69 :: v_dual_fmamk_f32 v69, v66, 0x3f62ad3f, v75
	v_add_f32_e32 v65, v65, v74
	v_dual_mul_f32 v74, 0xbf6f5d39, v14 :: v_dual_add_f32 v59, v59, v73
	v_fma_f32 v73, 0x3f116cb1, v58, -v76
	v_mul_f32_e32 v76, 0xbf6f5d39, v72
	v_add_f32_e32 v68, v68, v69
	s_delay_alu instid0(VALU_DEP_4) | instskip(NEXT) | instid1(VALU_DEP_3)
	v_fmamk_f32 v69, v44, 0xbeb58ec6, v74
	v_fmamk_f32 v77, v70, 0xbeb58ec6, v76
	v_fma_f32 v76, 0xbeb58ec6, v70, -v76
	s_delay_alu instid0(VALU_DEP_3) | instskip(NEXT) | instid1(VALU_DEP_3)
	v_add_f32_e32 v69, v1, v69
	v_dual_add_f32 v68, v68, v77 :: v_dual_mul_f32 v77, 0x3e750f2a, v67
	v_add_f32_e32 v65, v65, v73
	v_mul_f32_e32 v73, 0x3f29c268, v57
	s_delay_alu instid0(VALU_DEP_2) | instskip(SKIP_1) | instid1(VALU_DEP_3)
	v_add_f32_e32 v65, v65, v71
	v_fma_f32 v71, 0x3f62ad3f, v66, -v75
	v_fmamk_f32 v75, v56, 0xbf3f9e67, v73
	v_fma_f32 v73, 0xbf3f9e67, v56, -v73
	s_delay_alu instid0(VALU_DEP_3) | instskip(SKIP_1) | instid1(VALU_DEP_2)
	v_add_f32_e32 v65, v65, v71
	v_fma_f32 v71, 0xbeb58ec6, v44, -v74
	v_dual_fmamk_f32 v74, v58, 0x3f62ad3f, v78 :: v_dual_add_f32 v65, v65, v76
	s_delay_alu instid0(VALU_DEP_2) | instskip(NEXT) | instid1(VALU_DEP_1)
	v_dual_add_f32 v71, v1, v71 :: v_dual_mul_f32 v76, 0xbf7e222b, v14
	v_add_f32_e32 v71, v71, v73
	v_fma_f32 v73, 0x3f62ad3f, v58, -v78
	v_dual_mul_f32 v78, 0x3f52af12, v72 :: v_dual_add_f32 v69, v69, v75
	v_mul_f32_e32 v75, 0xbf7e222b, v63
	s_delay_alu instid0(VALU_DEP_3) | instskip(NEXT) | instid1(VALU_DEP_3)
	v_add_f32_e32 v71, v71, v73
	v_fmamk_f32 v79, v70, 0x3f116cb1, v78
	s_delay_alu instid0(VALU_DEP_4) | instskip(NEXT) | instid1(VALU_DEP_4)
	v_add_f32_e32 v69, v69, v74
	v_fma_f32 v73, 0x3df6dbef, v62, -v75
	v_fmamk_f32 v74, v62, 0x3df6dbef, v75
	v_fma_f32 v78, 0x3f116cb1, v70, -v78
	v_mul_f32_e32 v75, 0xbe750f2a, v57
	s_delay_alu instid0(VALU_DEP_4) | instskip(SKIP_2) | instid1(VALU_DEP_4)
	v_add_f32_e32 v71, v71, v73
	v_fma_f32 v73, 0xbf788fa5, v66, -v77
	v_dual_add_f32 v69, v69, v74 :: v_dual_fmamk_f32 v74, v66, 0xbf788fa5, v77
	v_fmamk_f32 v77, v56, 0xbf788fa5, v75
	v_fma_f32 v75, 0xbf788fa5, v56, -v75
	s_delay_alu instid0(VALU_DEP_4) | instskip(SKIP_1) | instid1(VALU_DEP_2)
	v_add_f32_e32 v71, v71, v73
	v_fma_f32 v73, 0x3df6dbef, v44, -v76
	v_add_f32_e32 v71, v71, v78
	v_mul_f32_e32 v78, 0xbf52af12, v14
	v_dual_add_f32 v69, v69, v74 :: v_dual_fmamk_f32 v74, v44, 0x3df6dbef, v76
	s_delay_alu instid0(VALU_DEP_4) | instskip(NEXT) | instid1(VALU_DEP_2)
	v_dual_fmamk_f32 v76, v58, 0xbeb58ec6, v80 :: v_dual_add_f32 v73, v1, v73
	v_dual_mul_f32 v14, 0xbeedf032, v14 :: v_dual_add_f32 v69, v69, v79
	s_delay_alu instid0(VALU_DEP_3) | instskip(NEXT) | instid1(VALU_DEP_3)
	v_dual_add_f32 v74, v1, v74 :: v_dual_mul_f32 v79, 0xbf52af12, v67
	v_add_f32_e32 v73, v73, v75
	v_fma_f32 v75, 0xbeb58ec6, v58, -v80
	v_mul_f32_e32 v80, 0xbf29c268, v72
	s_delay_alu instid0(VALU_DEP_4) | instskip(NEXT) | instid1(VALU_DEP_3)
	v_dual_add_f32 v74, v74, v77 :: v_dual_mul_f32 v77, 0x3eedf032, v63
	v_add_f32_e32 v73, v73, v75
	s_delay_alu instid0(VALU_DEP_3) | instskip(NEXT) | instid1(VALU_DEP_3)
	v_fmamk_f32 v81, v70, 0xbf3f9e67, v80
	v_add_f32_e32 v74, v74, v76
	s_delay_alu instid0(VALU_DEP_4)
	v_fmamk_f32 v76, v62, 0x3f62ad3f, v77
	v_fma_f32 v75, 0x3f62ad3f, v62, -v77
	v_mul_f32_e32 v77, 0xbf6f5d39, v57
	v_mul_f32_e32 v57, 0xbf52af12, v57
	v_fma_f32 v80, 0xbf3f9e67, v70, -v80
	v_add_f32_e32 v74, v74, v76
	v_dual_fmamk_f32 v76, v66, 0x3f116cb1, v79 :: v_dual_add_f32 v73, v73, v75
	v_fma_f32 v75, 0x3f116cb1, v66, -v79
	v_fmamk_f32 v79, v56, 0xbeb58ec6, v77
	v_fma_f32 v77, 0xbeb58ec6, v56, -v77
	s_delay_alu instid0(VALU_DEP_4) | instskip(SKIP_2) | instid1(VALU_DEP_3)
	v_add_f32_e32 v74, v74, v76
	v_fmamk_f32 v76, v44, 0x3f116cb1, v78
	v_fma_f32 v78, 0x3f116cb1, v44, -v78
	v_dual_add_f32 v73, v73, v75 :: v_dual_add_f32 v74, v74, v81
	s_delay_alu instid0(VALU_DEP_3) | instskip(NEXT) | instid1(VALU_DEP_3)
	v_add_f32_e32 v76, v1, v76
	v_dual_add_f32 v78, v1, v78 :: v_dual_mul_f32 v81, 0x3f7e222b, v67
	s_delay_alu instid0(VALU_DEP_2) | instskip(NEXT) | instid1(VALU_DEP_2)
	v_dual_add_f32 v75, v76, v79 :: v_dual_fmamk_f32 v76, v58, 0xbf788fa5, v82
	v_add_f32_e32 v77, v78, v77
	v_fma_f32 v78, 0xbf788fa5, v58, -v82
	v_dual_add_f32 v82, v1, v28 :: v_dual_mul_f32 v79, 0x3f29c268, v63
	s_delay_alu instid0(VALU_DEP_4) | instskip(SKIP_1) | instid1(VALU_DEP_4)
	v_add_f32_e32 v75, v75, v76
	v_mul_f32_e32 v63, 0xbf6f5d39, v63
	v_add_f32_e32 v77, v77, v78
	s_delay_alu instid0(VALU_DEP_4) | instskip(SKIP_2) | instid1(VALU_DEP_2)
	v_add_f32_e32 v78, v82, v26
	v_fmamk_f32 v76, v62, 0xbf3f9e67, v79
	v_fma_f32 v79, 0xbf3f9e67, v62, -v79
	v_dual_add_f32 v78, v78, v18 :: v_dual_add_f32 v75, v75, v76
	s_delay_alu instid0(VALU_DEP_2) | instskip(SKIP_1) | instid1(VALU_DEP_3)
	v_dual_fmamk_f32 v76, v66, 0x3df6dbef, v81 :: v_dual_add_f32 v77, v77, v79
	v_fma_f32 v79, 0x3df6dbef, v66, -v81
	v_dual_add_f32 v78, v78, v12 :: v_dual_fmamk_f32 v81, v44, 0x3f62ad3f, v14
	v_fma_f32 v14, 0x3f62ad3f, v44, -v14
	s_delay_alu instid0(VALU_DEP_2) | instskip(NEXT) | instid1(VALU_DEP_3)
	v_dual_add_f32 v77, v77, v79 :: v_dual_add_f32 v78, v78, v8
	v_dual_add_f32 v44, v1, v81 :: v_dual_fmamk_f32 v79, v56, 0x3f116cb1, v57
	s_delay_alu instid0(VALU_DEP_3) | instskip(SKIP_1) | instid1(VALU_DEP_4)
	v_add_f32_e32 v1, v1, v14
	v_fma_f32 v14, 0x3f116cb1, v56, -v57
	v_add_f32_e32 v56, v78, v4
	s_delay_alu instid0(VALU_DEP_4) | instskip(NEXT) | instid1(VALU_DEP_3)
	v_dual_fmamk_f32 v57, v58, 0x3df6dbef, v61 :: v_dual_add_f32 v44, v44, v79
	v_add_f32_e32 v1, v1, v14
	s_delay_alu instid0(VALU_DEP_3) | instskip(SKIP_1) | instid1(VALU_DEP_4)
	v_add_f32_e32 v14, v56, v6
	v_fma_f32 v56, 0x3df6dbef, v58, -v61
	v_dual_add_f32 v44, v44, v57 :: v_dual_fmamk_f32 v57, v62, 0xbeb58ec6, v63
	v_mul_f32_e32 v58, 0xbf29c268, v67
	s_delay_alu instid0(VALU_DEP_3) | instskip(SKIP_1) | instid1(VALU_DEP_3)
	v_dual_add_f32 v14, v10, v14 :: v_dual_add_f32 v1, v1, v56
	v_fma_f32 v56, 0xbeb58ec6, v62, -v63
	v_dual_add_f32 v44, v44, v57 :: v_dual_fmamk_f32 v57, v66, 0xbf3f9e67, v58
	s_delay_alu instid0(VALU_DEP_3) | instskip(NEXT) | instid1(VALU_DEP_3)
	v_dual_add_f32 v14, v16, v14 :: v_dual_mul_f32 v61, 0xbe750f2a, v72
	v_add_f32_e32 v1, v1, v56
	v_fma_f32 v56, 0xbf3f9e67, v66, -v58
	v_add_nc_u32_e32 v66, 0x129c, v60
	s_delay_alu instid0(VALU_DEP_4) | instskip(SKIP_4) | instid1(VALU_DEP_4)
	v_dual_add_f32 v14, v20, v14 :: v_dual_add_f32 v75, v75, v76
	v_mul_f32_e32 v76, 0x3eedf032, v72
	v_dual_add_f32 v73, v73, v80 :: v_dual_add_f32 v44, v44, v57
	v_fmamk_f32 v57, v70, 0xbf788fa5, v61
	v_add_f32_e32 v1, v1, v56
	v_fma_f32 v58, 0x3f62ad3f, v70, -v76
	v_fma_f32 v56, 0xbf788fa5, v70, -v61
	v_fmamk_f32 v80, v70, 0x3f62ad3f, v76
	v_add_f32_e32 v14, v24, v14
	v_dual_add_f32 v44, v44, v57 :: v_dual_add_nc_u32 v57, 0x1284, v60
	s_delay_alu instid0(VALU_DEP_4)
	v_add_f32_e32 v1, v1, v56
	v_add_nc_u32_e32 v56, 0x127c, v60
	v_add_f32_e32 v58, v77, v58
	v_add_nc_u32_e32 v62, 0x128c, v60
	v_add_nc_u32_e32 v63, 0x1294, v60
	v_add_f32_e32 v61, v75, v80
	v_dual_add_f32 v14, v22, v14 :: v_dual_add_nc_u32 v67, 0x12a4, v60
	ds_store_2addr_b32 v57, v58, v73 offset1:1
	ds_store_2addr_b32 v62, v71, v65 offset1:1
	;; [unrolled: 1-line block ×6, first 2 shown]
	ds_store_b32 v60, v44 offset:4780
.LBB0_15:
	s_wait_alu 0xfffe
	s_or_b32 exec_lo, exec_lo, s1
	v_dual_add_f32 v1, v45, v55 :: v_dual_sub_f32 v14, v54, v50
	v_add_f32_e32 v44, v51, v55
	v_sub_f32_e32 v48, v52, v48
	v_add_f32_e32 v50, v53, v49
	s_delay_alu instid0(VALU_DEP_4)
	v_add_f32_e32 v1, v1, v53
	v_mul_f32_e32 v53, 0xbf52af12, v14
	v_mul_f32_e32 v52, 0xbeedf032, v14
	;; [unrolled: 1-line block ×3, first 2 shown]
	global_wb scope:SCOPE_SE
	s_wait_dscnt 0x0
	v_dual_add_f32 v1, v1, v43 :: v_dual_mul_f32 v54, 0xbf7e222b, v14
	s_barrier_signal -1
	s_barrier_wait -1
	global_inv scope:SCOPE_SE
	v_dual_add_f32 v1, v1, v39 :: v_dual_mul_f32 v56, 0xbf29c268, v14
	v_dual_mul_f32 v14, 0xbe750f2a, v14 :: v_dual_mul_f32 v59, 0xbe750f2a, v48
	s_delay_alu instid0(VALU_DEP_2) | instskip(SKIP_3) | instid1(VALU_DEP_4)
	v_dual_sub_f32 v42, v42, v46 :: v_dual_add_f32 v1, v1, v35
	v_mul_f32_e32 v58, 0xbf6f5d39, v48
	v_sub_f32_e32 v38, v38, v40
	v_dual_sub_f32 v34, v34, v36 :: v_dual_add_f32 v35, v35, v37
	v_dual_add_f32 v1, v1, v31 :: v_dual_fmamk_f32 v62, v44, 0x3f62ad3f, v52
	v_fma_f32 v52, 0x3f62ad3f, v44, -v52
	v_mul_f32_e32 v61, 0x3f29c268, v48
	v_dual_fmamk_f32 v65, v44, 0xbeb58ec6, v55 :: v_dual_fmamk_f32 v68, v50, 0xbeb58ec6, v58
	s_delay_alu instid0(VALU_DEP_4) | instskip(SKIP_2) | instid1(VALU_DEP_3)
	v_dual_add_f32 v1, v1, v33 :: v_dual_fmamk_f32 v64, v44, 0x3df6dbef, v54
	v_dual_mul_f32 v57, 0xbf52af12, v48 :: v_dual_add_f32 v62, v62, v45
	v_fma_f32 v54, 0x3df6dbef, v44, -v54
	v_dual_add_f32 v1, v1, v37 :: v_dual_fmamk_f32 v66, v44, 0xbf3f9e67, v56
	v_fmamk_f32 v63, v44, 0x3f116cb1, v53
	v_fma_f32 v53, 0x3f116cb1, v44, -v53
	s_delay_alu instid0(VALU_DEP_4) | instskip(NEXT) | instid1(VALU_DEP_4)
	v_add_f32_e32 v54, v54, v45
	v_add_f32_e32 v1, v1, v41
	;; [unrolled: 1-line block ×3, first 2 shown]
	v_fma_f32 v55, 0xbeb58ec6, v44, -v55
	v_fma_f32 v56, 0xbf3f9e67, v44, -v56
	v_dual_fmamk_f32 v67, v44, 0xbf788fa5, v14 :: v_dual_add_f32 v66, v66, v45
	v_add_f32_e32 v1, v1, v47
	v_fma_f32 v14, 0xbf788fa5, v44, -v14
	v_dual_fmamk_f32 v44, v50, 0x3f116cb1, v57 :: v_dual_add_f32 v63, v63, v45
	v_fma_f32 v57, 0x3f116cb1, v50, -v57
	v_fma_f32 v58, 0xbeb58ec6, v50, -v58
	v_add_f32_e32 v52, v52, v45
	s_delay_alu instid0(VALU_DEP_4)
	v_dual_add_f32 v53, v53, v45 :: v_dual_add_f32 v44, v44, v62
	v_add_f32_e32 v1, v1, v49
	v_add_f32_e32 v65, v65, v45
	;; [unrolled: 1-line block ×5, first 2 shown]
	v_dual_add_f32 v14, v14, v45 :: v_dual_add_f32 v45, v57, v52
	v_dual_add_f32 v62, v51, v1 :: v_dual_fmamk_f32 v51, v50, 0xbf788fa5, v59
	v_add_f32_e32 v52, v58, v53
	v_fma_f32 v53, 0xbf788fa5, v50, -v59
	v_fma_f32 v58, 0xbf3f9e67, v50, -v61
	v_mul_f32_e32 v59, 0x3f7e222b, v48
	v_dual_mul_f32 v48, 0x3eedf032, v48 :: v_dual_add_f32 v1, v68, v63
	s_delay_alu instid0(VALU_DEP_4) | instskip(NEXT) | instid1(VALU_DEP_3)
	v_add_f32_e32 v53, v53, v54
	v_dual_add_f32 v51, v51, v64 :: v_dual_fmamk_f32 v46, v50, 0x3df6dbef, v59
	v_add_f32_e32 v55, v58, v55
	s_delay_alu instid0(VALU_DEP_4)
	v_fmamk_f32 v58, v50, 0x3f62ad3f, v48
	v_fma_f32 v48, 0x3f62ad3f, v50, -v48
	v_fmamk_f32 v57, v50, 0xbf3f9e67, v61
	v_add_f32_e32 v43, v47, v43
	v_mul_f32_e32 v47, 0xbf7e222b, v42
	v_add_f32_e32 v46, v46, v66
	v_add_f32_e32 v14, v48, v14
	;; [unrolled: 1-line block ×3, first 2 shown]
	v_fma_f32 v57, 0x3df6dbef, v50, -v59
	v_add_f32_e32 v49, v58, v49
	v_dual_sub_f32 v30, v30, v32 :: v_dual_add_f32 v61, v31, v33
	s_delay_alu instid0(VALU_DEP_3) | instskip(SKIP_2) | instid1(VALU_DEP_2)
	v_add_f32_e32 v50, v57, v56
	v_fmamk_f32 v56, v43, 0x3df6dbef, v47
	v_mul_f32_e32 v57, 0xbe750f2a, v42
	v_dual_mul_f32 v77, 0x3f7e222b, v30 :: v_dual_add_f32 v44, v44, v56
	s_delay_alu instid0(VALU_DEP_2) | instskip(SKIP_1) | instid1(VALU_DEP_3)
	v_fmamk_f32 v48, v43, 0xbf788fa5, v57
	v_mul_f32_e32 v56, 0x3f6f5d39, v42
	v_fmamk_f32 v78, v61, 0x3df6dbef, v77
	s_delay_alu instid0(VALU_DEP_2) | instskip(SKIP_1) | instid1(VALU_DEP_1)
	v_dual_add_f32 v1, v1, v48 :: v_dual_fmamk_f32 v48, v43, 0xbeb58ec6, v56
	v_fma_f32 v56, 0xbeb58ec6, v43, -v56
	v_add_f32_e32 v53, v53, v56
	s_delay_alu instid0(VALU_DEP_3) | instskip(SKIP_1) | instid1(VALU_DEP_1)
	v_add_f32_e32 v48, v51, v48
	v_fma_f32 v57, 0xbf788fa5, v43, -v57
	v_dual_mul_f32 v51, 0xbf52af12, v42 :: v_dual_add_f32 v52, v52, v57
	v_fma_f32 v47, 0x3df6dbef, v43, -v47
	s_delay_alu instid0(VALU_DEP_1) | instskip(SKIP_2) | instid1(VALU_DEP_3)
	v_dual_fmamk_f32 v40, v43, 0x3f116cb1, v51 :: v_dual_add_f32 v45, v45, v47
	v_mul_f32_e32 v47, 0x3eedf032, v42
	v_mul_f32_e32 v42, 0xbf29c268, v42
	v_add_f32_e32 v40, v46, v40
	v_fma_f32 v51, 0x3f116cb1, v43, -v51
	s_delay_alu instid0(VALU_DEP_4) | instskip(NEXT) | instid1(VALU_DEP_4)
	v_fmamk_f32 v57, v43, 0x3f62ad3f, v47
	v_fmamk_f32 v46, v43, 0xbf3f9e67, v42
	v_add_f32_e32 v39, v39, v41
	v_mul_f32_e32 v41, 0xbf6f5d39, v38
	v_fma_f32 v42, 0xbf3f9e67, v43, -v42
	v_add_f32_e32 v54, v54, v57
	v_fma_f32 v47, 0x3f62ad3f, v43, -v47
	v_add_f32_e32 v43, v50, v51
	v_mul_f32_e32 v51, 0x3f29c268, v38
	v_add_f32_e32 v46, v49, v46
	v_fmamk_f32 v50, v39, 0xbeb58ec6, v41
	v_dual_add_f32 v47, v55, v47 :: v_dual_add_f32 v14, v14, v42
	s_delay_alu instid0(VALU_DEP_2) | instskip(SKIP_2) | instid1(VALU_DEP_2)
	v_dual_mul_f32 v49, 0x3eedf032, v38 :: v_dual_add_f32 v42, v50, v44
	v_fma_f32 v41, 0xbeb58ec6, v39, -v41
	v_fma_f32 v50, 0xbf3f9e67, v39, -v51
	v_add_f32_e32 v41, v41, v45
	s_delay_alu instid0(VALU_DEP_2) | instskip(SKIP_1) | instid1(VALU_DEP_2)
	v_dual_mul_f32 v45, 0xbf7e222b, v38 :: v_dual_add_f32 v50, v50, v52
	v_fmamk_f32 v44, v39, 0xbf3f9e67, v51
	v_fmamk_f32 v51, v39, 0x3df6dbef, v45
	v_fma_f32 v45, 0x3df6dbef, v39, -v45
	s_delay_alu instid0(VALU_DEP_3) | instskip(NEXT) | instid1(VALU_DEP_1)
	v_dual_add_f32 v1, v44, v1 :: v_dual_fmamk_f32 v44, v39, 0x3f62ad3f, v49
	v_dual_add_f32 v45, v45, v47 :: v_dual_add_f32 v44, v44, v48
	v_mul_f32_e32 v48, 0x3e750f2a, v38
	v_mul_f32_e32 v37, 0xbf29c268, v34
	v_fma_f32 v49, 0x3f62ad3f, v39, -v49
	s_delay_alu instid0(VALU_DEP_3) | instskip(SKIP_3) | instid1(VALU_DEP_4)
	v_fmamk_f32 v36, v39, 0xbf788fa5, v48
	v_fma_f32 v47, 0xbf788fa5, v39, -v48
	v_mul_f32_e32 v38, 0x3f52af12, v38
	v_add_f32_e32 v51, v51, v54
	v_dual_add_f32 v49, v49, v53 :: v_dual_add_f32 v36, v36, v40
	s_delay_alu instid0(VALU_DEP_3)
	v_fmamk_f32 v40, v39, 0x3f116cb1, v38
	v_fma_f32 v38, 0x3f116cb1, v39, -v38
	v_add_f32_e32 v39, v47, v43
	v_fmamk_f32 v43, v35, 0xbf3f9e67, v37
	v_mul_f32_e32 v47, 0x3f7e222b, v34
	v_mul_f32_e32 v31, 0xbe750f2a, v30
	v_add_f32_e32 v14, v38, v14
	s_delay_alu instid0(VALU_DEP_4) | instskip(NEXT) | instid1(VALU_DEP_4)
	v_add_f32_e32 v38, v43, v42
	v_fmamk_f32 v42, v35, 0x3df6dbef, v47
	v_mul_f32_e32 v43, 0xbf52af12, v34
	s_delay_alu instid0(VALU_DEP_1) | instskip(SKIP_3) | instid1(VALU_DEP_4)
	v_dual_add_f32 v1, v42, v1 :: v_dual_fmamk_f32 v42, v35, 0x3f116cb1, v43
	v_add_f32_e32 v40, v40, v46
	v_fma_f32 v46, 0x3df6dbef, v35, -v47
	v_fma_f32 v43, 0x3f116cb1, v35, -v43
	v_add_f32_e32 v42, v42, v44
	v_fma_f32 v37, 0xbf3f9e67, v35, -v37
	v_mul_f32_e32 v44, 0x3eedf032, v34
	s_delay_alu instid0(VALU_DEP_4) | instskip(NEXT) | instid1(VALU_DEP_3)
	v_dual_add_f32 v46, v46, v50 :: v_dual_add_f32 v43, v43, v49
	v_add_f32_e32 v37, v37, v41
	v_mul_f32_e32 v41, 0x3e750f2a, v34
	s_delay_alu instid0(VALU_DEP_4) | instskip(NEXT) | instid1(VALU_DEP_1)
	v_fmamk_f32 v32, v35, 0x3f62ad3f, v44
	v_dual_mul_f32 v34, 0xbf6f5d39, v34 :: v_dual_add_f32 v63, v32, v36
	s_delay_alu instid0(VALU_DEP_1) | instskip(SKIP_3) | instid1(VALU_DEP_4)
	v_fmamk_f32 v32, v35, 0xbeb58ec6, v34
	v_fma_f32 v33, 0xbeb58ec6, v35, -v34
	v_fmamk_f32 v34, v61, 0xbf788fa5, v31
	v_fma_f32 v31, 0xbf788fa5, v61, -v31
	v_dual_add_f32 v65, v32, v40 :: v_dual_mul_f32 v32, 0xbf29c268, v30
	s_delay_alu instid0(VALU_DEP_2) | instskip(SKIP_1) | instid1(VALU_DEP_3)
	v_add_f32_e32 v68, v31, v37
	v_fmamk_f32 v47, v35, 0xbf788fa5, v41
	v_add_f32_e32 v65, v78, v65
	v_fma_f32 v41, 0xbf788fa5, v35, -v41
	s_delay_alu instid0(VALU_DEP_3) | instskip(NEXT) | instid1(VALU_DEP_2)
	v_dual_add_f32 v66, v33, v14 :: v_dual_add_f32 v47, v47, v51
	v_add_f32_e32 v50, v41, v45
	v_fma_f32 v41, 0x3f62ad3f, v35, -v44
	s_delay_alu instid0(VALU_DEP_1) | instskip(NEXT) | instid1(VALU_DEP_1)
	v_dual_mul_f32 v35, 0x3eedf032, v30 :: v_dual_add_f32 v64, v41, v39
	v_fmamk_f32 v14, v61, 0x3f62ad3f, v35
	s_delay_alu instid0(VALU_DEP_1) | instskip(SKIP_1) | instid1(VALU_DEP_1)
	v_add_f32_e32 v69, v14, v1
	v_fma_f32 v14, 0xbf3f9e67, v61, -v32
	v_add_f32_e32 v72, v14, v43
	v_fma_f32 v33, 0x3f62ad3f, v61, -v35
	s_delay_alu instid0(VALU_DEP_1) | instskip(SKIP_1) | instid1(VALU_DEP_1)
	v_add_f32_e32 v70, v33, v46
	v_mul_f32_e32 v33, 0xbf6f5d39, v30
	v_fma_f32 v76, 0xbeb58ec6, v61, -v33
	v_mul_f32_e32 v31, 0x3f52af12, v30
	s_delay_alu instid0(VALU_DEP_2) | instskip(NEXT) | instid1(VALU_DEP_2)
	v_dual_fmamk_f32 v75, v61, 0xbeb58ec6, v33 :: v_dual_add_f32 v64, v76, v64
	v_fma_f32 v74, 0x3f116cb1, v61, -v31
	v_fmamk_f32 v1, v61, 0xbf3f9e67, v32
	v_fmamk_f32 v32, v61, 0x3f116cb1, v31
	v_fma_f32 v61, 0x3df6dbef, v61, -v77
	s_delay_alu instid0(VALU_DEP_4) | instskip(NEXT) | instid1(VALU_DEP_4)
	v_dual_add_f32 v63, v75, v63 :: v_dual_add_f32 v74, v74, v50
	v_add_f32_e32 v71, v1, v42
	v_mad_i32_i24 v1, 0xffffffd0, v0, v60
	v_add_f32_e32 v73, v32, v47
	v_dual_add_f32 v67, v34, v38 :: v_dual_add_nc_u32 v50, 0x5b, v0
	s_delay_alu instid0(VALU_DEP_3)
	v_add_nc_u32_e32 v58, 0x1200, v1
	v_add_nc_u32_e32 v51, 0x200, v1
	;; [unrolled: 1-line block ×3, first 2 shown]
	v_dual_add_f32 v61, v61, v66 :: v_dual_add_nc_u32 v52, 0x800, v1
	v_add_nc_u32_e32 v56, 0x400, v1
	v_add_nc_u32_e32 v53, 0xa00, v1
	;; [unrolled: 1-line block ×5, first 2 shown]
	ds_load_2addr_b32 v[32:33], v1 offset1:91
	ds_load_2addr_b32 v[30:31], v51 offset0:54 offset1:145
	ds_load_2addr_b32 v[48:49], v52 offset0:34 offset1:125
	ds_load_2addr_b32 v[34:35], v53 offset0:88 offset1:179
	ds_load_2addr_b32 v[46:47], v54 offset0:68 offset1:159
	ds_load_2addr_b32 v[36:37], v58 offset0:122 offset1:213
	ds_load_2addr_b32 v[44:45], v57 offset0:102 offset1:193
	ds_load_2addr_b32 v[42:43], v56 offset0:108 offset1:199
	ds_load_2addr_b32 v[40:41], v55 offset0:142 offset1:233
	ds_load_2addr_b32 v[38:39], v59 offset0:48 offset1:139
	ds_load_b32 v14, v1 offset:7280
	global_wb scope:SCOPE_SE
	s_wait_dscnt 0x0
	s_barrier_signal -1
	s_barrier_wait -1
	global_inv scope:SCOPE_SE
	ds_store_2addr_b32 v60, v62, v67 offset1:1
	ds_store_2addr_b32 v60, v69, v71 offset0:2 offset1:3
	ds_store_2addr_b32 v60, v73, v63 offset0:4 offset1:5
	;; [unrolled: 1-line block ×5, first 2 shown]
	ds_store_b32 v60, v68 offset:48
	s_and_saveexec_b32 s1, s0
	s_cbranch_execz .LBB0_17
; %bb.16:
	v_sub_f32_e32 v22, v28, v22
	v_add_f32_e32 v60, v15, v29
	v_dual_add_f32 v28, v29, v23 :: v_dual_add_f32 v29, v27, v25
	s_delay_alu instid0(VALU_DEP_3) | instskip(NEXT) | instid1(VALU_DEP_3)
	v_dual_sub_f32 v24, v26, v24 :: v_dual_mul_f32 v63, 0xbf29c268, v22
	v_dual_add_f32 v26, v60, v27 :: v_dual_mul_f32 v27, 0xbeedf032, v22
	v_mul_f32_e32 v61, 0xbf7e222b, v22
	s_delay_alu instid0(VALU_DEP_3) | instskip(NEXT) | instid1(VALU_DEP_3)
	v_mul_f32_e32 v65, 0xbf6f5d39, v24
	v_dual_mul_f32 v67, 0x3f29c268, v24 :: v_dual_add_f32 v26, v26, v19
	s_delay_alu instid0(VALU_DEP_4) | instskip(SKIP_4) | instid1(VALU_DEP_4)
	v_fmamk_f32 v68, v28, 0x3f62ad3f, v27
	v_fma_f32 v27, 0x3f62ad3f, v28, -v27
	v_mul_f32_e32 v60, 0xbf52af12, v22
	v_fmamk_f32 v70, v28, 0x3df6dbef, v61
	v_fma_f32 v61, 0x3df6dbef, v28, -v61
	v_dual_sub_f32 v18, v18, v20 :: v_dual_add_f32 v27, v15, v27
	s_delay_alu instid0(VALU_DEP_4) | instskip(SKIP_1) | instid1(VALU_DEP_4)
	v_dual_add_f32 v26, v26, v13 :: v_dual_fmamk_f32 v69, v28, 0x3f116cb1, v60
	v_mul_f32_e32 v62, 0xbf6f5d39, v22
	v_dual_mul_f32 v22, 0xbe750f2a, v22 :: v_dual_add_f32 v61, v15, v61
	v_fma_f32 v60, 0x3f116cb1, v28, -v60
	s_delay_alu instid0(VALU_DEP_4) | instskip(NEXT) | instid1(VALU_DEP_4)
	v_add_f32_e32 v69, v15, v69
	v_dual_add_f32 v26, v26, v9 :: v_dual_fmamk_f32 v71, v28, 0xbeb58ec6, v62
	v_fmamk_f32 v72, v28, 0xbf3f9e67, v63
	v_fma_f32 v63, 0xbf3f9e67, v28, -v63
	s_delay_alu instid0(VALU_DEP_3) | instskip(SKIP_2) | instid1(VALU_DEP_4)
	v_dual_fmamk_f32 v73, v28, 0xbf788fa5, v22 :: v_dual_add_f32 v26, v26, v5
	v_mul_f32_e32 v66, 0xbe750f2a, v24
	v_add_f32_e32 v60, v15, v60
	v_dual_add_f32 v63, v15, v63 :: v_dual_fmamk_f32 v74, v29, 0xbeb58ec6, v65
	s_delay_alu instid0(VALU_DEP_4) | instskip(SKIP_3) | instid1(VALU_DEP_4)
	v_add_f32_e32 v26, v26, v7
	v_fma_f32 v65, 0xbeb58ec6, v29, -v65
	v_dual_mul_f32 v64, 0xbf52af12, v24 :: v_dual_add_f32 v71, v15, v71
	v_fma_f32 v62, 0xbeb58ec6, v28, -v62
	v_add_f32_e32 v26, v11, v26
	s_delay_alu instid0(VALU_DEP_4) | instskip(SKIP_2) | instid1(VALU_DEP_4)
	v_dual_add_f32 v60, v60, v65 :: v_dual_fmamk_f32 v65, v29, 0xbf3f9e67, v67
	v_fma_f32 v22, 0xbf788fa5, v28, -v22
	v_dual_fmamk_f32 v28, v29, 0x3f116cb1, v64 :: v_dual_add_f32 v19, v19, v21
	v_add_f32_e32 v26, v17, v26
	v_fma_f32 v64, 0x3f116cb1, v29, -v64
	v_dual_add_f32 v62, v15, v62 :: v_dual_add_f32 v13, v13, v17
	v_sub_f32_e32 v12, v12, v16
	s_delay_alu instid0(VALU_DEP_3) | instskip(SKIP_3) | instid1(VALU_DEP_4)
	v_dual_add_f32 v26, v21, v26 :: v_dual_add_f32 v27, v27, v64
	v_add_f32_e32 v72, v15, v72
	v_fma_f32 v64, 0xbf788fa5, v29, -v66
	v_add_f32_e32 v70, v15, v70
	v_dual_add_f32 v25, v25, v26 :: v_dual_add_f32 v68, v15, v68
	v_add_f32_e32 v26, v15, v73
	v_add_f32_e32 v15, v15, v22
	v_dual_add_f32 v61, v61, v64 :: v_dual_add_f32 v64, v71, v65
	s_delay_alu instid0(VALU_DEP_4)
	v_add_f32_e32 v22, v68, v28
	v_fmamk_f32 v28, v29, 0xbf788fa5, v66
	v_fma_f32 v66, 0xbf3f9e67, v29, -v67
	v_mul_f32_e32 v67, 0x3f7e222b, v24
	v_mul_f32_e32 v24, 0x3eedf032, v24
	;; [unrolled: 1-line block ×3, first 2 shown]
	s_delay_alu instid0(VALU_DEP_4) | instskip(NEXT) | instid1(VALU_DEP_4)
	v_dual_add_f32 v23, v23, v25 :: v_dual_add_f32 v62, v62, v66
	v_fma_f32 v65, 0x3df6dbef, v29, -v67
	v_fmamk_f32 v20, v29, 0x3df6dbef, v67
	v_fmamk_f32 v66, v29, 0x3f62ad3f, v24
	v_fma_f32 v24, 0x3f62ad3f, v29, -v24
	v_mul_f32_e32 v17, 0xbf6f5d39, v12
	v_add_f32_e32 v29, v63, v65
	v_fmamk_f32 v63, v19, 0x3df6dbef, v21
	v_mul_f32_e32 v65, 0xbe750f2a, v18
	v_fma_f32 v21, 0x3df6dbef, v19, -v21
	v_add_f32_e32 v25, v69, v74
	v_add_f32_e32 v15, v15, v24
	v_dual_add_f32 v9, v9, v11 :: v_dual_sub_f32 v8, v8, v10
	s_delay_alu instid0(VALU_DEP_4)
	v_dual_add_f32 v21, v27, v21 :: v_dual_add_f32 v22, v22, v63
	v_fmamk_f32 v24, v19, 0xbf788fa5, v65
	v_mul_f32_e32 v63, 0x3f6f5d39, v18
	v_fma_f32 v65, 0xbf788fa5, v19, -v65
	v_dual_mul_f32 v27, 0x3eedf032, v18 :: v_dual_add_f32 v28, v70, v28
	v_mul_f32_e32 v11, 0xbf29c268, v8
	s_delay_alu instid0(VALU_DEP_3) | instskip(SKIP_4) | instid1(VALU_DEP_4)
	v_dual_add_f32 v5, v5, v7 :: v_dual_add_f32 v60, v60, v65
	v_dual_add_f32 v24, v25, v24 :: v_dual_fmamk_f32 v25, v19, 0xbeb58ec6, v63
	v_fma_f32 v63, 0xbeb58ec6, v19, -v63
	v_fmamk_f32 v65, v19, 0x3f62ad3f, v27
	v_fma_f32 v27, 0x3f62ad3f, v19, -v27
	v_add_f32_e32 v25, v28, v25
	s_delay_alu instid0(VALU_DEP_4) | instskip(NEXT) | instid1(VALU_DEP_4)
	v_add_f32_e32 v61, v61, v63
	v_dual_add_f32 v63, v64, v65 :: v_dual_mul_f32 v28, 0xbf52af12, v18
	s_delay_alu instid0(VALU_DEP_4) | instskip(SKIP_1) | instid1(VALU_DEP_3)
	v_dual_add_f32 v27, v62, v27 :: v_dual_add_f32 v20, v72, v20
	v_mul_f32_e32 v18, 0xbf29c268, v18
	v_fmamk_f32 v16, v19, 0x3f116cb1, v28
	v_fma_f32 v28, 0x3f116cb1, v19, -v28
	s_delay_alu instid0(VALU_DEP_2) | instskip(NEXT) | instid1(VALU_DEP_4)
	v_add_f32_e32 v16, v20, v16
	v_fmamk_f32 v20, v19, 0xbf3f9e67, v18
	v_fma_f32 v18, 0xbf3f9e67, v19, -v18
	v_fmamk_f32 v19, v13, 0xbeb58ec6, v17
	v_fma_f32 v17, 0xbeb58ec6, v13, -v17
	s_delay_alu instid0(VALU_DEP_3) | instskip(SKIP_1) | instid1(VALU_DEP_4)
	v_add_f32_e32 v15, v15, v18
	v_add_f32_e32 v26, v26, v66
	;; [unrolled: 1-line block ×4, first 2 shown]
	v_mul_f32_e32 v29, 0x3f29c268, v12
	s_delay_alu instid0(VALU_DEP_4) | instskip(SKIP_1) | instid1(VALU_DEP_3)
	v_dual_add_f32 v17, v21, v17 :: v_dual_add_f32 v20, v26, v20
	v_mul_f32_e32 v26, 0xbf7e222b, v12
	v_fma_f32 v21, 0xbf3f9e67, v13, -v29
	v_fmamk_f32 v19, v13, 0xbf3f9e67, v29
	s_delay_alu instid0(VALU_DEP_3) | instskip(SKIP_1) | instid1(VALU_DEP_4)
	v_fmamk_f32 v29, v13, 0x3df6dbef, v26
	v_fma_f32 v26, 0x3df6dbef, v13, -v26
	v_dual_add_f32 v21, v60, v21 :: v_dual_mul_f32 v22, 0x3eedf032, v12
	s_delay_alu instid0(VALU_DEP_4) | instskip(NEXT) | instid1(VALU_DEP_4)
	v_add_f32_e32 v19, v24, v19
	v_dual_add_f32 v29, v63, v29 :: v_dual_mul_f32 v10, 0x3f52af12, v12
	s_delay_alu instid0(VALU_DEP_4) | instskip(NEXT) | instid1(VALU_DEP_4)
	v_add_f32_e32 v26, v27, v26
	v_fmamk_f32 v24, v13, 0x3f62ad3f, v22
	v_fma_f32 v22, 0x3f62ad3f, v13, -v22
	s_delay_alu instid0(VALU_DEP_4) | instskip(SKIP_1) | instid1(VALU_DEP_4)
	v_fmamk_f32 v27, v13, 0x3f116cb1, v10
	v_fma_f32 v10, 0x3f116cb1, v13, -v10
	v_add_f32_e32 v24, v25, v24
	s_delay_alu instid0(VALU_DEP_2) | instskip(SKIP_1) | instid1(VALU_DEP_2)
	v_dual_mul_f32 v25, 0x3e750f2a, v12 :: v_dual_add_f32 v10, v15, v10
	v_mul_f32_e32 v15, 0xbf52af12, v8
	v_fmamk_f32 v12, v13, 0xbf788fa5, v25
	v_fma_f32 v25, 0xbf788fa5, v13, -v25
	s_delay_alu instid0(VALU_DEP_2) | instskip(NEXT) | instid1(VALU_DEP_1)
	v_dual_fmamk_f32 v13, v9, 0xbf3f9e67, v11 :: v_dual_add_f32 v12, v16, v12
	v_add_f32_e32 v13, v18, v13
	s_delay_alu instid0(VALU_DEP_3) | instskip(SKIP_1) | instid1(VALU_DEP_1)
	v_add_f32_e32 v16, v28, v25
	v_fma_f32 v11, 0xbf3f9e67, v9, -v11
	v_dual_sub_f32 v4, v4, v6 :: v_dual_add_f32 v11, v17, v11
	v_dual_add_f32 v20, v20, v27 :: v_dual_fmamk_f32 v27, v9, 0x3f116cb1, v15
	v_dual_add_f32 v22, v61, v22 :: v_dual_mul_f32 v25, 0x3f7e222b, v8
	v_fma_f32 v15, 0x3f116cb1, v9, -v15
	s_delay_alu instid0(VALU_DEP_2) | instskip(SKIP_2) | instid1(VALU_DEP_3)
	v_fmamk_f32 v18, v9, 0x3df6dbef, v25
	v_fma_f32 v17, 0x3df6dbef, v9, -v25
	v_mul_f32_e32 v25, 0x3e750f2a, v8
	v_dual_add_f32 v15, v22, v15 :: v_dual_add_f32 v18, v19, v18
	s_delay_alu instid0(VALU_DEP_3) | instskip(SKIP_1) | instid1(VALU_DEP_4)
	v_add_f32_e32 v17, v21, v17
	v_add_f32_e32 v21, v24, v27
	v_fma_f32 v24, 0xbf788fa5, v9, -v25
	s_delay_alu instid0(VALU_DEP_1) | instskip(SKIP_1) | instid1(VALU_DEP_2)
	v_dual_fmamk_f32 v19, v9, 0xbf788fa5, v25 :: v_dual_add_f32 v24, v26, v24
	v_mul_f32_e32 v22, 0x3eedf032, v8
	v_dual_mul_f32 v8, 0xbf6f5d39, v8 :: v_dual_add_f32 v19, v29, v19
	s_delay_alu instid0(VALU_DEP_2) | instskip(SKIP_2) | instid1(VALU_DEP_4)
	v_fmamk_f32 v6, v9, 0x3f62ad3f, v22
	v_fma_f32 v22, 0x3f62ad3f, v9, -v22
	v_mul_f32_e32 v7, 0xbe750f2a, v4
	v_fmamk_f32 v25, v9, 0xbeb58ec6, v8
	v_fma_f32 v8, 0xbeb58ec6, v9, -v8
	v_add_f32_e32 v6, v12, v6
	s_delay_alu instid0(VALU_DEP_4) | instskip(SKIP_1) | instid1(VALU_DEP_4)
	v_dual_add_f32 v9, v16, v22 :: v_dual_fmamk_f32 v16, v5, 0xbf788fa5, v7
	v_fma_f32 v7, 0xbf788fa5, v5, -v7
	v_add_f32_e32 v8, v10, v8
	s_delay_alu instid0(VALU_DEP_3) | instskip(SKIP_1) | instid1(VALU_DEP_4)
	v_dual_add_f32 v13, v13, v16 :: v_dual_add_f32 v12, v20, v25
	v_mul_f32_e32 v20, 0x3eedf032, v4
	v_dual_mul_f32 v10, 0xbf29c268, v4 :: v_dual_add_f32 v7, v11, v7
	v_mul_f32_e32 v11, 0x3f52af12, v4
	s_delay_alu instid0(VALU_DEP_3) | instskip(SKIP_1) | instid1(VALU_DEP_4)
	v_fmamk_f32 v16, v5, 0x3f62ad3f, v20
	v_fma_f32 v20, 0x3f62ad3f, v5, -v20
	v_fmamk_f32 v22, v5, 0xbf3f9e67, v10
	v_fma_f32 v10, 0xbf3f9e67, v5, -v10
	s_delay_alu instid0(VALU_DEP_4) | instskip(NEXT) | instid1(VALU_DEP_4)
	v_add_f32_e32 v16, v18, v16
	v_add_f32_e32 v17, v17, v20
	s_delay_alu instid0(VALU_DEP_4) | instskip(SKIP_4) | instid1(VALU_DEP_4)
	v_dual_add_f32 v18, v21, v22 :: v_dual_mul_f32 v21, 0xbf6f5d39, v4
	v_fmamk_f32 v20, v5, 0x3f116cb1, v11
	v_mul_f32_e32 v4, 0x3f7e222b, v4
	v_add_f32_e32 v10, v15, v10
	v_fma_f32 v11, 0x3f116cb1, v5, -v11
	v_add_f32_e32 v15, v19, v20
	v_fmamk_f32 v19, v5, 0xbeb58ec6, v21
	v_fmamk_f32 v20, v5, 0x3df6dbef, v4
	v_fma_f32 v4, 0x3df6dbef, v5, -v4
	v_fma_f32 v5, 0xbeb58ec6, v5, -v21
	v_mad_u32_u24 v21, v50, 52, 0
	v_add_f32_e32 v6, v6, v19
	v_add_f32_e32 v12, v12, v20
	;; [unrolled: 1-line block ×5, first 2 shown]
	ds_store_2addr_b32 v21, v23, v13 offset1:1
	ds_store_2addr_b32 v21, v16, v18 offset0:2 offset1:3
	ds_store_2addr_b32 v21, v15, v6 offset0:4 offset1:5
	;; [unrolled: 1-line block ×5, first 2 shown]
	ds_store_b32 v21, v7 offset:48
.LBB0_17:
	s_wait_alu 0xfffe
	s_or_b32 exec_lo, exec_lo, s1
	v_and_b32_e32 v4, 0xff, v0
	global_wb scope:SCOPE_SE
	s_wait_dscnt 0x0
	s_barrier_signal -1
	s_barrier_wait -1
	global_inv scope:SCOPE_SE
	v_mul_lo_u16 v4, 0x4f, v4
	s_delay_alu instid0(VALU_DEP_1) | instskip(NEXT) | instid1(VALU_DEP_1)
	v_lshrrev_b16 v13, 10, v4
	v_mul_lo_u16 v4, v13, 13
	v_and_b32_e32 v13, 0xffff, v13
	s_delay_alu instid0(VALU_DEP_2) | instskip(NEXT) | instid1(VALU_DEP_2)
	v_sub_nc_u16 v4, v0, v4
	v_mul_u32_u24_e32 v13, 0x16c, v13
	s_delay_alu instid0(VALU_DEP_2) | instskip(NEXT) | instid1(VALU_DEP_1)
	v_and_b32_e32 v23, 0xff, v4
	v_mul_u32_u24_e32 v4, 6, v23
	s_delay_alu instid0(VALU_DEP_1)
	v_lshlrev_b32_e32 v4, 3, v4
	s_clause 0x2
	global_load_b128 v[9:12], v4, s[4:5]
	global_load_b128 v[15:18], v4, s[4:5] offset:16
	global_load_b128 v[19:22], v4, s[4:5] offset:32
	v_and_b32_e32 v4, 0xff, v50
	s_wait_loadcnt 0x2
	v_mul_f32_e32 v85, v31, v10
	s_wait_loadcnt 0x1
	v_mul_f32_e32 v87, v35, v16
	v_mul_lo_u16 v4, 0x4f, v4
	s_wait_loadcnt 0x0
	v_dual_mul_f32 v89, v44, v22 :: v_dual_add_nc_u32 v24, 0xb6, v0
	s_delay_alu instid0(VALU_DEP_2) | instskip(NEXT) | instid1(VALU_DEP_2)
	v_lshrrev_b16 v29, 10, v4
	v_and_b32_e32 v8, 0xffff, v24
	s_delay_alu instid0(VALU_DEP_2) | instskip(NEXT) | instid1(VALU_DEP_1)
	v_mul_lo_u16 v4, v29, 13
	v_sub_nc_u16 v4, v50, v4
	s_delay_alu instid0(VALU_DEP_1) | instskip(NEXT) | instid1(VALU_DEP_1)
	v_and_b32_e32 v80, 0xff, v4
	v_mul_u32_u24_e32 v4, 6, v80
	s_delay_alu instid0(VALU_DEP_1) | instskip(SKIP_4) | instid1(VALU_DEP_2)
	v_lshlrev_b32_e32 v64, 3, v4
	v_mul_u32_u24_e32 v4, 0x4ec5, v8
	global_load_b128 v[25:28], v64, s[4:5]
	v_lshrrev_b32_e32 v81, 18, v4
	v_mul_f32_e32 v86, v48, v12
	v_mul_lo_u16 v4, v81, 13
	s_delay_alu instid0(VALU_DEP_1)
	v_sub_nc_u16 v60, v24, v4
	ds_load_2addr_b32 v[4:5], v51 offset0:54 offset1:145
	ds_load_2addr_b32 v[6:7], v52 offset0:34 offset1:125
	;; [unrolled: 1-line block ×6, first 2 shown]
	v_and_b32_e32 v82, 0xffff, v60
	global_load_b128 v[60:63], v64, s[4:5] offset:16
	v_mul_u32_u24_e32 v65, 6, v82
	s_wait_dscnt 0x5
	s_delay_alu instid0(VALU_DEP_1)
	v_dual_mul_f32 v84, v5, v10 :: v_dual_lshlrev_b32 v83, 3, v65
	s_wait_dscnt 0x4
	v_dual_mul_f32 v10, v6, v12 :: v_dual_fmac_f32 v85, v5, v9
	s_wait_dscnt 0x0
	v_dual_mul_f32 v12, v73, v16 :: v_dual_mul_f32 v5, v78, v22
	v_mul_f32_e32 v16, v74, v18
	s_clause 0x1
	global_load_b128 v[64:67], v64, s[4:5] offset:32
	global_load_b128 v[68:71], v83, s[4:5]
	v_fma_f32 v31, v31, v9, -v84
	v_fma_f32 v48, v48, v11, -v10
	;; [unrolled: 1-line block ×3, first 2 shown]
	v_dual_mul_f32 v84, v37, v20 :: v_dual_lshlrev_b32 v23, 2, v23
	v_fma_f32 v35, v35, v15, -v12
	v_fmac_f32_e32 v87, v73, v15
	v_fmac_f32_e32 v89, v78, v21
	ds_load_2addr_b32 v[21:22], v59 offset0:48 offset1:139
	v_add3_u32 v23, 0, v13, v23
	v_mul_u32_u24_e32 v8, 0x6817, v8
	s_delay_alu instid0(VALU_DEP_1) | instskip(SKIP_3) | instid1(VALU_DEP_2)
	v_lshrrev_b32_e32 v8, 16, v8
	s_wait_loadcnt 0x3
	v_mul_f32_e32 v5, v7, v28
	v_mul_f32_e32 v28, v49, v28
	v_fma_f32 v49, v49, v27, -v5
	s_delay_alu instid0(VALU_DEP_2)
	v_dual_fmac_f32 v28, v7, v27 :: v_dual_mul_f32 v27, v42, v26
	v_fmac_f32_e32 v86, v6, v11
	ds_load_2addr_b32 v[5:6], v56 offset0:108 offset1:199
	v_mul_f32_e32 v88, v46, v18
	v_mul_f32_e32 v18, v77, v20
	v_fma_f32 v46, v46, v17, -v16
	global_load_b128 v[9:12], v83, s[4:5] offset:16
	s_wait_loadcnt 0x3
	v_mul_f32_e32 v13, v75, v63
	s_delay_alu instid0(VALU_DEP_1)
	v_fma_f32 v13, v47, v62, -v13
	s_wait_dscnt 0x0
	v_mul_f32_e32 v7, v5, v26
	v_fmac_f32_e32 v27, v5, v25
	v_fmac_f32_e32 v88, v74, v17
	v_and_b32_e32 v5, 0xffff, v29
	v_fma_f32 v37, v37, v19, -v18
	global_load_b128 v[15:18], v83, s[4:5] offset:32
	v_fma_f32 v7, v42, v25, -v7
	v_lshlrev_b32_e32 v25, 2, v80
	v_mul_u32_u24_e32 v5, 0x16c, v5
	v_mul_u32_u24_e32 v29, 0x16c, v81
	s_delay_alu instid0(VALU_DEP_2)
	v_add3_u32 v73, 0, v5, v25
	v_mul_f32_e32 v5, v47, v63
	v_fmac_f32_e32 v84, v77, v19
	ds_load_2addr_b32 v[19:20], v55 offset0:142 offset1:233
	v_lshlrev_b32_e32 v42, 2, v82
	ds_load_2addr_b32 v[25:26], v1 offset1:91
	v_fmac_f32_e32 v5, v75, v62
	s_wait_loadcnt 0x2
	v_mul_f32_e32 v63, v34, v71
	v_mul_f32_e32 v62, v45, v67
	s_delay_alu instid0(VALU_DEP_1)
	v_fmac_f32_e32 v62, v79, v66
	s_wait_dscnt 0x1
	v_mul_f32_e32 v47, v19, v61
	v_add3_u32 v29, 0, v29, v42
	ds_load_b32 v42, v1 offset:7280
	v_mul_f32_e32 v61, v40, v61
	global_wb scope:SCOPE_SE
	s_wait_loadcnt_dscnt 0x0
	v_fma_f32 v40, v40, v60, -v47
	v_mul_f32_e32 v47, v38, v65
	s_barrier_signal -1
	v_fmac_f32_e32 v61, v19, v60
	v_dual_mul_f32 v19, v21, v65 :: v_dual_mul_f32 v60, v79, v67
	s_delay_alu instid0(VALU_DEP_3)
	v_fmac_f32_e32 v47, v21, v64
	s_barrier_wait -1
	global_inv scope:SCOPE_SE
	v_fma_f32 v19, v38, v64, -v19
	v_mul_f32_e32 v38, v6, v69
	v_fma_f32 v21, v45, v66, -v60
	v_dual_mul_f32 v45, v43, v69 :: v_dual_mul_f32 v60, v72, v71
	s_delay_alu instid0(VALU_DEP_3) | instskip(NEXT) | instid1(VALU_DEP_2)
	v_fma_f32 v38, v43, v68, -v38
	v_fma_f32 v34, v34, v70, -v60
	v_mul_f32_e32 v64, v20, v10
	v_dual_mul_f32 v10, v41, v10 :: v_dual_mul_f32 v65, v76, v12
	v_mul_f32_e32 v12, v36, v12
	v_fmac_f32_e32 v45, v6, v68
	s_delay_alu instid0(VALU_DEP_4)
	v_fma_f32 v41, v41, v9, -v64
	v_fmac_f32_e32 v63, v72, v70
	v_fmac_f32_e32 v10, v20, v9
	;; [unrolled: 1-line block ×3, first 2 shown]
	v_fma_f32 v9, v36, v11, -v65
	v_sub_f32_e32 v20, v85, v89
	v_dual_sub_f32 v36, v48, v37 :: v_dual_mul_f32 v43, v22, v16
	v_mul_f32_e32 v16, v39, v16
	v_mul_f32_e32 v6, v42, v18
	;; [unrolled: 1-line block ×3, first 2 shown]
	s_delay_alu instid0(VALU_DEP_4)
	v_fma_f32 v11, v39, v15, -v43
	v_sub_f32_e32 v43, v88, v87
	v_dual_fmac_f32 v16, v22, v15 :: v_dual_add_f32 v39, v35, v46
	v_fma_f32 v6, v14, v17, -v6
	v_fmac_f32_e32 v18, v42, v17
	v_dual_add_f32 v14, v31, v44 :: v_dual_sub_f32 v35, v46, v35
	v_add_f32_e32 v15, v85, v89
	v_dual_sub_f32 v17, v31, v44 :: v_dual_add_f32 v22, v48, v37
	v_sub_f32_e32 v37, v86, v84
	v_add_f32_e32 v31, v86, v84
	v_add_f32_e32 v42, v87, v88
	;; [unrolled: 1-line block ×4, first 2 shown]
	v_dual_sub_f32 v7, v7, v21 :: v_dual_add_f32 v48, v28, v47
	v_sub_f32_e32 v21, v27, v62
	v_add_f32_e32 v27, v49, v19
	v_sub_f32_e32 v19, v49, v19
	v_dual_sub_f32 v28, v28, v47 :: v_dual_add_f32 v49, v61, v5
	v_add_f32_e32 v47, v40, v13
	v_sub_f32_e32 v13, v13, v40
	v_dual_sub_f32 v5, v5, v61 :: v_dual_add_f32 v40, v22, v14
	v_dual_add_f32 v60, v31, v15 :: v_dual_sub_f32 v61, v22, v14
	v_sub_f32_e32 v62, v31, v15
	v_dual_sub_f32 v14, v14, v39 :: v_dual_sub_f32 v15, v15, v42
	v_dual_sub_f32 v22, v39, v22 :: v_dual_sub_f32 v31, v42, v31
	v_add_f32_e32 v64, v35, v36
	v_add_f32_e32 v65, v43, v37
	v_sub_f32_e32 v66, v35, v36
	v_sub_f32_e32 v67, v43, v37
	v_dual_sub_f32 v36, v36, v17 :: v_dual_sub_f32 v37, v37, v20
	v_dual_add_f32 v68, v27, v44 :: v_dual_add_f32 v69, v48, v46
	v_dual_sub_f32 v70, v27, v44 :: v_dual_sub_f32 v71, v48, v46
	v_dual_sub_f32 v46, v46, v49 :: v_dual_sub_f32 v75, v13, v19
	;; [unrolled: 1-line block ×3, first 2 shown]
	v_dual_add_f32 v72, v13, v19 :: v_dual_sub_f32 v13, v7, v13
	v_dual_add_f32 v74, v5, v28 :: v_dual_sub_f32 v19, v19, v7
	v_dual_sub_f32 v76, v5, v28 :: v_dual_add_f32 v77, v38, v6
	v_dual_sub_f32 v5, v21, v5 :: v_dual_sub_f32 v6, v38, v6
	v_sub_f32_e32 v28, v28, v21
	v_add_f32_e32 v78, v45, v18
	v_sub_f32_e32 v18, v45, v18
	v_dual_add_f32 v38, v34, v11 :: v_dual_add_f32 v45, v63, v16
	v_sub_f32_e32 v16, v63, v16
	v_dual_add_f32 v63, v10, v12 :: v_dual_sub_f32 v10, v12, v10
	v_mul_f32_e32 v15, 0x3f4a47b2, v15
	v_sub_f32_e32 v35, v17, v35
	v_sub_f32_e32 v43, v20, v43
	;; [unrolled: 1-line block ×3, first 2 shown]
	v_dual_sub_f32 v11, v34, v11 :: v_dual_add_f32 v34, v41, v9
	v_dual_sub_f32 v9, v9, v41 :: v_dual_add_f32 v12, v39, v40
	v_mul_f32_e32 v41, 0x3d64c772, v31
	v_add_f32_e32 v39, v42, v60
	v_dual_add_f32 v17, v64, v17 :: v_dual_add_f32 v20, v65, v20
	v_mul_f32_e32 v65, 0x3f5ff5aa, v37
	v_dual_mul_f32 v14, 0x3f4a47b2, v14 :: v_dual_add_f32 v47, v47, v68
	v_dual_mul_f32 v40, 0x3d64c772, v22 :: v_dual_add_f32 v49, v49, v69
	;; [unrolled: 1-line block ×4, first 2 shown]
	v_mul_f32_e32 v64, 0x3f5ff5aa, v36
	v_mul_f32_e32 v46, 0x3f4a47b2, v46
	v_dual_mul_f32 v66, 0x3d64c772, v27 :: v_dual_mul_f32 v67, 0x3d64c772, v48
	v_dual_mul_f32 v68, 0xbf08b237, v75 :: v_dual_mul_f32 v69, 0xbf08b237, v76
	v_mul_f32_e32 v72, 0x3f5ff5aa, v19
	v_dual_mul_f32 v74, 0x3f5ff5aa, v28 :: v_dual_add_f32 v81, v9, v11
	v_dual_add_f32 v75, v38, v77 :: v_dual_add_f32 v76, v45, v78
	v_dual_sub_f32 v80, v45, v78 :: v_dual_fmamk_f32 v31, v31, 0x3d64c772, v15
	v_sub_f32_e32 v78, v78, v63
	v_dual_add_f32 v82, v10, v16 :: v_dual_add_f32 v25, v25, v39
	v_sub_f32_e32 v84, v10, v16
	v_dual_mul_f32 v44, 0x3f4a47b2, v44 :: v_dual_sub_f32 v79, v38, v77
	v_sub_f32_e32 v77, v77, v34
	v_dual_sub_f32 v38, v34, v38 :: v_dual_sub_f32 v83, v9, v11
	v_sub_f32_e32 v45, v63, v45
	v_sub_f32_e32 v9, v6, v9
	v_dual_sub_f32 v10, v18, v10 :: v_dual_add_f32 v33, v33, v47
	v_sub_f32_e32 v11, v11, v6
	v_dual_sub_f32 v16, v16, v18 :: v_dual_fmamk_f32 v27, v27, 0x3d64c772, v44
	v_add_f32_e32 v32, v32, v12
	v_dual_fmamk_f32 v22, v22, 0x3d64c772, v14 :: v_dual_add_f32 v63, v63, v76
	v_fma_f32 v40, 0x3f3bfb3b, v61, -v40
	v_fma_f32 v41, 0x3f3bfb3b, v62, -v41
	;; [unrolled: 1-line block ×4, first 2 shown]
	v_fmamk_f32 v61, v35, 0x3eae86e6, v42
	v_fma_f32 v36, 0x3f5ff5aa, v36, -v42
	v_fma_f32 v37, 0x3f5ff5aa, v37, -v60
	;; [unrolled: 1-line block ×4, first 2 shown]
	v_dual_add_f32 v26, v26, v49 :: v_dual_fmamk_f32 v65, v5, 0x3eae86e6, v69
	v_fma_f32 v19, 0x3f5ff5aa, v19, -v68
	v_fma_f32 v28, 0x3f5ff5aa, v28, -v69
	;; [unrolled: 1-line block ×3, first 2 shown]
	v_add_f32_e32 v34, v34, v75
	v_fmamk_f32 v62, v43, 0x3eae86e6, v60
	v_fmamk_f32 v43, v48, 0x3d64c772, v46
	v_fma_f32 v60, 0x3f3bfb3b, v71, -v67
	v_fma_f32 v46, 0xbf3bfb3b, v71, -v46
	v_dual_add_f32 v18, v82, v18 :: v_dual_mul_f32 v71, 0xbf08b237, v84
	v_fmamk_f32 v64, v13, 0x3eae86e6, v68
	v_fma_f32 v13, 0xbeae86e6, v13, -v72
	v_mul_f32_e32 v67, 0x3f4a47b2, v78
	v_fma_f32 v48, 0x3f3bfb3b, v70, -v66
	v_fma_f32 v44, 0xbf3bfb3b, v70, -v44
	v_mul_f32_e32 v68, 0x3d64c772, v38
	v_dual_fmamk_f32 v12, v12, 0xbf955555, v32 :: v_dual_fmamk_f32 v39, v39, 0xbf955555, v25
	v_mul_f32_e32 v66, 0x3f4a47b2, v77
	v_mul_f32_e32 v74, 0x3f5ff5aa, v16
	v_dual_fmac_f32 v36, 0x3ee1c552, v17 :: v_dual_fmac_f32 v37, 0x3ee1c552, v20
	v_dual_fmac_f32 v35, 0x3ee1c552, v17 :: v_dual_fmac_f32 v42, 0x3ee1c552, v20
	v_dual_fmac_f32 v64, 0x3ee1c552, v7 :: v_dual_fmac_f32 v65, 0x3ee1c552, v21
	v_dual_fmac_f32 v19, 0x3ee1c552, v7 :: v_dual_fmac_f32 v28, 0x3ee1c552, v21
	v_dual_fmac_f32 v13, 0x3ee1c552, v7 :: v_dual_add_f32 v22, v22, v12
	v_fmac_f32_e32 v5, 0x3ee1c552, v21
	v_dual_add_f32 v7, v30, v34 :: v_dual_add_f32 v30, v4, v63
	v_dual_fmac_f32 v61, 0x3ee1c552, v17 :: v_dual_fmac_f32 v62, 0x3ee1c552, v20
	v_dual_fmamk_f32 v17, v47, 0xbf955555, v33 :: v_dual_fmamk_f32 v20, v49, 0xbf955555, v26
	v_mul_f32_e32 v70, 0xbf08b237, v83
	v_mul_f32_e32 v72, 0x3f5ff5aa, v11
	v_fmamk_f32 v21, v45, 0x3d64c772, v67
	v_fma_f32 v49, 0xbf3bfb3b, v80, -v67
	v_dual_fmamk_f32 v67, v10, 0x3eae86e6, v71 :: v_dual_add_f32 v6, v81, v6
	v_mul_f32_e32 v69, 0x3d64c772, v45
	v_fma_f32 v16, 0x3f5ff5aa, v16, -v71
	v_dual_add_f32 v31, v31, v39 :: v_dual_fmamk_f32 v4, v38, 0x3d64c772, v66
	v_fma_f32 v38, 0x3f3bfb3b, v79, -v68
	v_fma_f32 v47, 0xbf3bfb3b, v79, -v66
	v_dual_add_f32 v40, v40, v12 :: v_dual_fmac_f32 v67, 0x3ee1c552, v18
	v_add_f32_e32 v41, v41, v39
	v_fma_f32 v10, 0xbeae86e6, v10, -v74
	v_add_f32_e32 v12, v14, v12
	v_add_f32_e32 v14, v15, v39
	v_dual_add_f32 v15, v27, v17 :: v_dual_fmamk_f32 v66, v9, 0x3eae86e6, v70
	v_fma_f32 v11, 0x3f5ff5aa, v11, -v70
	v_add_f32_e32 v27, v43, v20
	v_add_f32_e32 v43, v60, v20
	v_fma_f32 v9, 0xbeae86e6, v9, -v72
	v_add_f32_e32 v39, v48, v17
	v_dual_add_f32 v17, v44, v17 :: v_dual_add_f32 v20, v46, v20
	v_fmamk_f32 v34, v34, 0xbf955555, v7
	v_fmamk_f32 v44, v63, 0xbf955555, v30
	v_fma_f32 v45, 0x3f3bfb3b, v80, -v69
	v_fmac_f32_e32 v66, 0x3ee1c552, v6
	v_fmac_f32_e32 v11, 0x3ee1c552, v6
	;; [unrolled: 1-line block ×5, first 2 shown]
	v_add_f32_e32 v6, v62, v22
	v_sub_f32_e32 v18, v31, v61
	v_add_f32_e32 v46, v42, v12
	v_sub_f32_e32 v68, v14, v35
	v_sub_f32_e32 v48, v40, v37
	v_add_f32_e32 v69, v36, v41
	v_add_f32_e32 v37, v37, v40
	v_dual_sub_f32 v36, v41, v36 :: v_dual_add_f32 v35, v35, v14
	v_dual_add_f32 v31, v61, v31 :: v_dual_sub_f32 v40, v27, v64
	v_dual_add_f32 v41, v5, v17 :: v_dual_sub_f32 v14, v22, v62
	v_add_f32_e32 v22, v65, v15
	v_sub_f32_e32 v5, v17, v5
	v_dual_add_f32 v17, v13, v20 :: v_dual_add_f32 v4, v4, v34
	v_sub_f32_e32 v12, v12, v42
	v_sub_f32_e32 v42, v20, v13
	v_dual_sub_f32 v13, v15, v65 :: v_dual_add_f32 v20, v64, v27
	v_add_f32_e32 v15, v21, v44
	v_add_f32_e32 v21, v38, v34
	v_dual_add_f32 v27, v47, v34 :: v_dual_add_f32 v34, v49, v44
	v_add_f32_e32 v38, v45, v44
	v_sub_f32_e32 v60, v39, v28
	v_add_f32_e32 v70, v19, v43
	v_add_f32_e32 v28, v28, v39
	v_sub_f32_e32 v19, v43, v19
	v_dual_add_f32 v44, v10, v27 :: v_dual_sub_f32 v45, v21, v16
	v_add_f32_e32 v16, v16, v21
	v_dual_sub_f32 v10, v27, v10 :: v_dual_add_f32 v27, v66, v15
	v_dual_add_f32 v39, v67, v4 :: v_dual_sub_f32 v4, v4, v67
	v_sub_f32_e32 v43, v15, v66
	v_dual_sub_f32 v49, v34, v9 :: v_dual_add_f32 v64, v11, v38
	v_dual_sub_f32 v38, v38, v11 :: v_dual_add_f32 v9, v9, v34
	ds_store_2addr_b32 v23, v32, v6 offset1:13
	ds_store_2addr_b32 v23, v46, v48 offset0:26 offset1:39
	ds_store_2addr_b32 v23, v37, v12 offset0:52 offset1:65
	ds_store_b32 v23, v14 offset:312
	ds_store_2addr_b32 v73, v33, v22 offset1:13
	ds_store_2addr_b32 v73, v41, v60 offset0:26 offset1:39
	ds_store_2addr_b32 v73, v28, v5 offset0:52 offset1:65
	ds_store_b32 v73, v13 offset:312
	;; [unrolled: 4-line block ×3, first 2 shown]
	global_wb scope:SCOPE_SE
	s_wait_dscnt 0x0
	s_barrier_signal -1
	s_barrier_wait -1
	global_inv scope:SCOPE_SE
	ds_load_2addr_b32 v[6:7], v1 offset1:91
	ds_load_2addr_b32 v[4:5], v51 offset0:54 offset1:145
	ds_load_2addr_b32 v[21:22], v52 offset0:34 offset1:125
	;; [unrolled: 1-line block ×9, first 2 shown]
	ds_load_b32 v16, v1 offset:7280
	global_wb scope:SCOPE_SE
	s_wait_dscnt 0x0
	s_barrier_signal -1
	s_barrier_wait -1
	global_inv scope:SCOPE_SE
	ds_store_2addr_b32 v23, v25, v18 offset1:13
	ds_store_2addr_b32 v23, v68, v69 offset0:26 offset1:39
	ds_store_2addr_b32 v23, v36, v35 offset0:52 offset1:65
	ds_store_b32 v23, v31 offset:312
	ds_store_2addr_b32 v73, v26, v40 offset1:13
	ds_store_2addr_b32 v73, v42, v70 offset0:26 offset1:39
	ds_store_2addr_b32 v73, v19, v17 offset0:52 offset1:65
	v_mul_u32_u24_e32 v17, 6, v0
	ds_store_b32 v73, v20 offset:312
	ds_store_2addr_b32 v29, v30, v43 offset1:13
	ds_store_2addr_b32 v29, v49, v64 offset0:26 offset1:39
	ds_store_2addr_b32 v29, v38, v9 offset0:52 offset1:65
	ds_store_b32 v29, v27 offset:312
	global_wb scope:SCOPE_SE
	s_wait_dscnt 0x0
	s_barrier_signal -1
	v_lshlrev_b32_e32 v9, 3, v17
	s_barrier_wait -1
	global_inv scope:SCOPE_SE
	v_sub_nc_u16 v23, v24, v8
	s_clause 0x2
	global_load_b128 v[17:20], v9, s[4:5] offset:624
	global_load_b128 v[25:28], v9, s[4:5] offset:640
	;; [unrolled: 1-line block ×3, first 2 shown]
	v_lshrrev_b16 v23, 1, v23
	s_delay_alu instid0(VALU_DEP_1) | instskip(NEXT) | instid1(VALU_DEP_1)
	v_add_nc_u16 v8, v23, v8
	v_lshrrev_b16 v8, 6, v8
	s_delay_alu instid0(VALU_DEP_1) | instskip(NEXT) | instid1(VALU_DEP_1)
	v_mul_lo_u16 v8, 0x5b, v8
	v_sub_nc_u16 v8, v24, v8
	s_delay_alu instid0(VALU_DEP_1) | instskip(NEXT) | instid1(VALU_DEP_1)
	v_and_b32_e32 v23, 0xffff, v8
	v_mul_u32_u24_e32 v8, 6, v23
	v_lshl_add_u32 v49, v23, 2, 0
	s_wait_loadcnt 0x1
	v_mul_f32_e32 v91, v45, v28
	s_delay_alu instid0(VALU_DEP_3)
	v_lshlrev_b32_e32 v8, 3, v8
	s_clause 0x2
	global_load_b128 v[33:36], v8, s[4:5] offset:624
	global_load_b128 v[37:40], v8, s[4:5] offset:640
	;; [unrolled: 1-line block ×3, first 2 shown]
	ds_load_2addr_b32 v[8:9], v51 offset0:54 offset1:145
	ds_load_2addr_b32 v[64:65], v52 offset0:34 offset1:125
	;; [unrolled: 1-line block ×4, first 2 shown]
	ds_load_2addr_b32 v[70:71], v1 offset1:91
	ds_load_2addr_b32 v[72:73], v58 offset0:122 offset1:213
	ds_load_2addr_b32 v[74:75], v57 offset0:102 offset1:193
	ds_load_2addr_b32 v[76:77], v56 offset0:108 offset1:199
	ds_load_2addr_b32 v[78:79], v55 offset0:142 offset1:233
	ds_load_2addr_b32 v[80:81], v59 offset0:48 offset1:139
	ds_load_b32 v23, v1 offset:7280
	v_mul_f32_e32 v86, v21, v20
	v_mul_f32_e32 v84, v5, v18
	;; [unrolled: 1-line block ×3, first 2 shown]
	v_add_nc_u32_e32 v82, 0x1200, v49
	global_wb scope:SCOPE_SE
	s_wait_loadcnt_dscnt 0x0
	s_barrier_signal -1
	s_barrier_wait -1
	global_inv scope:SCOPE_SE
	v_mul_f32_e32 v83, v9, v18
	v_mul_f32_e32 v85, v64, v20
	v_mul_f32_e32 v89, v65, v20
	v_mul_f32_e32 v20, v22, v20
	v_fmac_f32_e32 v86, v64, v19
	v_fma_f32 v5, v5, v17, -v83
	v_fma_f32 v21, v21, v19, -v85
	;; [unrolled: 1-line block ×3, first 2 shown]
	v_mul_f32_e32 v85, v73, v30
	v_dual_mul_f32 v89, v76, v18 :: v_dual_fmac_f32 v20, v65, v19
	v_dual_mul_f32 v19, v11, v30 :: v_dual_mul_f32 v90, v68, v28
	v_mul_f32_e32 v18, v60, v18
	s_delay_alu instid0(VALU_DEP_4) | instskip(SKIP_1) | instid1(VALU_DEP_4)
	v_fma_f32 v11, v11, v29, -v85
	v_mul_f32_e32 v87, v67, v26
	v_fmac_f32_e32 v19, v73, v29
	v_fmac_f32_e32 v84, v9, v17
	v_fma_f32 v9, v60, v17, -v89
	v_mul_f32_e32 v60, v74, v32
	v_mul_f32_e32 v64, v47, v32
	v_fma_f32 v45, v45, v27, -v90
	v_fma_f32 v13, v13, v25, -v87
	v_fmac_f32_e32 v91, v68, v27
	v_fma_f32 v47, v47, v31, -v60
	v_dual_fmac_f32 v18, v76, v17 :: v_dual_mul_f32 v17, v69, v28
	v_mul_f32_e32 v28, v46, v28
	s_delay_alu instid0(VALU_DEP_2) | instskip(SKIP_2) | instid1(VALU_DEP_2)
	v_fma_f32 v17, v46, v27, -v17
	v_mul_f32_e32 v46, v78, v26
	v_mul_f32_e32 v26, v62, v26
	v_fma_f32 v46, v62, v25, -v46
	s_delay_alu instid0(VALU_DEP_2) | instskip(SKIP_2) | instid1(VALU_DEP_2)
	v_fmac_f32_e32 v26, v78, v25
	v_mul_f32_e32 v62, v77, v34
	v_mul_f32_e32 v34, v61, v34
	v_fma_f32 v60, v61, v33, -v62
	v_mul_f32_e32 v61, v23, v44
	v_mul_f32_e32 v44, v16, v44
	s_delay_alu instid0(VALU_DEP_4) | instskip(NEXT) | instid1(VALU_DEP_3)
	v_fmac_f32_e32 v34, v77, v33
	v_fma_f32 v16, v16, v43, -v61
	s_delay_alu instid0(VALU_DEP_3) | instskip(SKIP_4) | instid1(VALU_DEP_2)
	v_fmac_f32_e32 v44, v23, v43
	v_add_f32_e32 v23, v5, v47
	v_sub_f32_e32 v5, v5, v47
	v_dual_fmac_f32 v28, v69, v27 :: v_dual_mul_f32 v27, v80, v30
	v_mul_f32_e32 v30, v14, v30
	v_fma_f32 v14, v14, v29, -v27
	s_delay_alu instid0(VALU_DEP_2)
	v_fmac_f32_e32 v30, v80, v29
	v_mul_f32_e32 v27, v72, v40
	v_dual_mul_f32 v29, v10, v40 :: v_dual_fmac_f32 v88, v67, v25
	v_mul_f32_e32 v25, v75, v32
	v_mul_f32_e32 v32, v48, v32
	;; [unrolled: 1-line block ×4, first 2 shown]
	v_fma_f32 v10, v10, v39, -v27
	v_fma_f32 v25, v48, v31, -v25
	v_mul_f32_e32 v48, v66, v36
	v_mul_f32_e32 v36, v12, v36
	v_fma_f32 v15, v15, v41, -v40
	v_fmac_f32_e32 v42, v81, v41
	v_add_f32_e32 v41, v9, v25
	v_fma_f32 v12, v12, v35, -v48
	v_dual_sub_f32 v9, v9, v25 :: v_dual_fmac_f32 v36, v66, v35
	v_add_f32_e32 v35, v21, v11
	v_sub_f32_e32 v11, v21, v11
	v_dual_fmac_f32 v64, v74, v31 :: v_dual_add_f32 v21, v13, v45
	v_dual_sub_f32 v13, v45, v13 :: v_dual_fmac_f32 v32, v75, v31
	v_add_f32_e32 v25, v22, v14
	v_mul_f32_e32 v31, v79, v38
	v_dual_mul_f32 v38, v63, v38 :: v_dual_fmac_f32 v29, v72, v39
	s_delay_alu instid0(VALU_DEP_4) | instskip(SKIP_1) | instid1(VALU_DEP_4)
	v_add_f32_e32 v43, v18, v32
	v_sub_f32_e32 v14, v22, v14
	v_fma_f32 v31, v63, v37, -v31
	v_dual_add_f32 v22, v46, v17 :: v_dual_sub_f32 v17, v17, v46
	v_add_f32_e32 v45, v34, v44
	v_sub_f32_e32 v34, v34, v44
	v_add_f32_e32 v44, v12, v15
	v_add_f32_e32 v46, v36, v42
	v_sub_f32_e32 v12, v12, v15
	v_sub_f32_e32 v15, v36, v42
	v_add_f32_e32 v36, v31, v10
	v_sub_f32_e32 v10, v10, v31
	v_add_f32_e32 v31, v35, v23
	v_sub_f32_e32 v47, v35, v23
	v_dual_sub_f32 v35, v21, v35 :: v_dual_fmac_f32 v38, v79, v37
	v_add_f32_e32 v37, v86, v19
	v_dual_sub_f32 v19, v86, v19 :: v_dual_sub_f32 v40, v91, v88
	v_sub_f32_e32 v33, v84, v64
	v_sub_f32_e32 v18, v18, v32
	v_dual_add_f32 v27, v84, v64 :: v_dual_add_f32 v64, v25, v41
	s_delay_alu instid0(VALU_DEP_4)
	v_dual_sub_f32 v63, v40, v19 :: v_dual_add_f32 v42, v38, v29
	v_sub_f32_e32 v29, v29, v38
	v_add_f32_e32 v32, v20, v30
	v_sub_f32_e32 v20, v20, v30
	v_add_f32_e32 v30, v26, v28
	v_dual_sub_f32 v26, v28, v26 :: v_dual_add_f32 v75, v46, v45
	s_delay_alu instid0(VALU_DEP_4)
	v_dual_sub_f32 v66, v25, v41 :: v_dual_sub_f32 v67, v32, v43
	v_add_f32_e32 v61, v40, v19
	v_sub_f32_e32 v19, v19, v33
	v_add_f32_e32 v65, v32, v43
	v_sub_f32_e32 v43, v43, v30
	v_dual_sub_f32 v25, v22, v25 :: v_dual_add_f32 v68, v17, v14
	v_add_f32_e32 v69, v26, v20
	v_sub_f32_e32 v73, v26, v20
	v_dual_add_f32 v28, v60, v16 :: v_dual_sub_f32 v77, v46, v45
	v_add_f32_e32 v39, v88, v91
	v_dual_sub_f32 v23, v23, v21 :: v_dual_sub_f32 v40, v33, v40
	v_sub_f32_e32 v41, v41, v22
	v_sub_f32_e32 v62, v13, v11
	v_dual_sub_f32 v32, v30, v32 :: v_dual_add_f32 v21, v21, v31
	v_dual_sub_f32 v72, v17, v14 :: v_dual_mul_f32 v43, 0x3f4a47b2, v43
	v_dual_sub_f32 v17, v9, v17 :: v_dual_add_f32 v74, v44, v28
	v_add_f32_e32 v33, v61, v33
	v_add_f32_e32 v79, v29, v15
	v_sub_f32_e32 v81, v29, v15
	v_dual_sub_f32 v15, v15, v34 :: v_dual_sub_f32 v16, v60, v16
	v_sub_f32_e32 v45, v45, v42
	v_mul_f32_e32 v61, 0xbf08b237, v63
	v_mul_f32_e32 v63, 0x3f5ff5aa, v19
	v_dual_add_f32 v60, v13, v11 :: v_dual_sub_f32 v11, v11, v5
	v_sub_f32_e32 v26, v18, v26
	v_sub_f32_e32 v20, v20, v18
	v_dual_add_f32 v18, v69, v18 :: v_dual_mul_f32 v69, 0xbf08b237, v73
	v_sub_f32_e32 v14, v14, v9
	v_add_f32_e32 v9, v68, v9
	s_delay_alu instid0(VALU_DEP_4) | instskip(SKIP_3) | instid1(VALU_DEP_4)
	v_dual_mul_f32 v73, 0x3f5ff5aa, v20 :: v_dual_add_f32 v38, v37, v27
	v_sub_f32_e32 v13, v5, v13
	v_dual_add_f32 v5, v60, v5 :: v_dual_sub_f32 v48, v37, v27
	v_sub_f32_e32 v27, v27, v39
	v_add_f32_e32 v31, v39, v38
	v_dual_sub_f32 v37, v39, v37 :: v_dual_sub_f32 v76, v44, v28
	v_dual_mul_f32 v45, 0x3f4a47b2, v45 :: v_dual_sub_f32 v44, v36, v44
	v_sub_f32_e32 v46, v42, v46
	v_sub_f32_e32 v29, v34, v29
	v_add_f32_e32 v70, v70, v31
	v_fma_f32 v19, 0x3f5ff5aa, v19, -v61
	v_dual_add_f32 v34, v79, v34 :: v_dual_mul_f32 v79, 0xbf08b237, v81
	v_dual_mul_f32 v81, 0x3f5ff5aa, v15 :: v_dual_sub_f32 v28, v28, v36
	s_delay_alu instid0(VALU_DEP_4)
	v_dual_add_f32 v36, v36, v74 :: v_dual_fmamk_f32 v31, v31, 0xbf955555, v70
	v_mul_f32_e32 v23, 0x3f4a47b2, v23
	v_mul_f32_e32 v27, 0x3f4a47b2, v27
	;; [unrolled: 1-line block ×5, first 2 shown]
	v_add_f32_e32 v4, v4, v36
	v_add_f32_e32 v6, v6, v21
	v_dual_add_f32 v78, v10, v12 :: v_dual_fmamk_f32 v35, v35, 0x3d64c772, v23
	v_dual_sub_f32 v80, v10, v12 :: v_dual_fmamk_f32 v37, v37, 0x3d64c772, v27
	s_delay_alu instid0(VALU_DEP_3)
	v_dual_add_f32 v30, v30, v65 :: v_dual_fmamk_f32 v21, v21, 0xbf955555, v6
	v_fma_f32 v39, 0x3f3bfb3b, v48, -v39
	v_fma_f32 v23, 0xbf3bfb3b, v47, -v23
	v_mul_f32_e32 v68, 0xbf08b237, v72
	v_add_f32_e32 v22, v22, v64
	v_fma_f32 v27, 0xbf3bfb3b, v48, -v27
	v_mul_f32_e32 v64, 0x3d64c772, v25
	v_fmamk_f32 v48, v40, 0x3eae86e6, v61
	v_fma_f32 v40, 0xbeae86e6, v40, -v63
	v_fmamk_f32 v25, v25, 0x3d64c772, v41
	v_fma_f32 v38, 0x3f3bfb3b, v47, -v38
	v_mul_f32_e32 v60, 0xbf08b237, v62
	v_fma_f32 v15, 0x3f5ff5aa, v15, -v79
	v_fmac_f32_e32 v48, 0x3ee1c552, v33
	v_fmac_f32_e32 v19, 0x3ee1c552, v33
	;; [unrolled: 1-line block ×3, first 2 shown]
	v_add_f32_e32 v33, v38, v21
	v_fmac_f32_e32 v15, 0x3ee1c552, v34
	v_dual_sub_f32 v10, v16, v10 :: v_dual_fmamk_f32 v47, v13, 0x3eae86e6, v60
	v_dual_add_f32 v42, v42, v75 :: v_dual_fmamk_f32 v63, v17, 0x3eae86e6, v68
	v_dual_sub_f32 v12, v12, v16 :: v_dual_add_f32 v7, v7, v22
	s_delay_alu instid0(VALU_DEP_3)
	v_fmac_f32_e32 v47, 0x3ee1c552, v5
	v_mul_f32_e32 v62, 0x3f5ff5aa, v11
	v_fma_f32 v11, 0x3f5ff5aa, v11, -v60
	v_mul_f32_e32 v65, 0x3d64c772, v32
	v_add_f32_e32 v16, v78, v16
	v_add_f32_e32 v60, v71, v30
	v_fma_f32 v13, 0xbeae86e6, v13, -v62
	v_fma_f32 v41, 0xbf3bfb3b, v66, -v41
	v_fmac_f32_e32 v11, 0x3ee1c552, v5
	v_fma_f32 v62, 0x3f3bfb3b, v67, -v65
	v_mul_f32_e32 v75, 0x3d64c772, v46
	v_fmac_f32_e32 v13, 0x3ee1c552, v5
	v_fmamk_f32 v5, v22, 0xbf955555, v7
	v_mul_f32_e32 v78, 0xbf08b237, v80
	v_mul_f32_e32 v80, 0x3f5ff5aa, v12
	v_fmamk_f32 v32, v32, 0x3d64c772, v43
	v_fma_f32 v43, 0xbf3bfb3b, v67, -v43
	v_dual_mul_f32 v72, 0x3f5ff5aa, v14 :: v_dual_add_f32 v25, v25, v5
	v_fmamk_f32 v67, v10, 0x3eae86e6, v78
	v_fma_f32 v12, 0x3f5ff5aa, v12, -v78
	v_fma_f32 v10, 0xbeae86e6, v10, -v80
	;; [unrolled: 1-line block ×4, first 2 shown]
	v_fmac_f32_e32 v67, 0x3ee1c552, v16
	v_fmac_f32_e32 v12, 0x3ee1c552, v16
	;; [unrolled: 1-line block ×3, first 2 shown]
	v_add_f32_e32 v16, v35, v21
	v_add_f32_e32 v21, v23, v21
	v_fma_f32 v14, 0x3f5ff5aa, v14, -v68
	v_fmamk_f32 v68, v29, 0x3eae86e6, v79
	v_fma_f32 v29, 0xbeae86e6, v29, -v81
	v_add_f32_e32 v23, v27, v31
	v_fma_f32 v61, 0x3f3bfb3b, v66, -v64
	v_mul_f32_e32 v74, 0x3d64c772, v44
	v_fmamk_f32 v22, v30, 0xbf955555, v60
	v_dual_fmac_f32 v14, 0x3ee1c552, v9 :: v_dual_fmac_f32 v29, 0x3ee1c552, v34
	v_fmac_f32_e32 v68, 0x3ee1c552, v34
	v_add_f32_e32 v30, v37, v31
	v_dual_add_f32 v34, v39, v31 :: v_dual_add_f32 v31, v61, v5
	v_add_f32_e32 v5, v41, v5
	v_dual_sub_f32 v41, v23, v13 :: v_dual_mul_f32 v28, 0x3f4a47b2, v28
	v_add_f32_e32 v27, v32, v22
	v_add_f32_e32 v65, v8, v42
	v_dual_fmac_f32 v63, 0x3ee1c552, v9 :: v_dual_fmac_f32 v20, 0x3ee1c552, v18
	v_fmac_f32_e32 v17, 0x3ee1c552, v9
	v_fmamk_f32 v8, v44, 0x3d64c772, v28
	v_dual_fmamk_f32 v44, v46, 0x3d64c772, v45 :: v_dual_add_f32 v39, v40, v21
	v_fma_f32 v46, 0x3f3bfb3b, v76, -v74
	v_fma_f32 v28, 0xbf3bfb3b, v76, -v28
	v_fmamk_f32 v9, v36, 0xbf955555, v4
	v_fmamk_f32 v64, v26, 0x3eae86e6, v69
	v_fma_f32 v26, 0xbeae86e6, v26, -v73
	v_add_f32_e32 v32, v62, v22
	v_fma_f32 v66, 0x3f3bfb3b, v77, -v75
	v_add_f32_e32 v36, v46, v9
	v_add_f32_e32 v22, v43, v22
	v_fmac_f32_e32 v26, 0x3ee1c552, v18
	v_dual_add_f32 v43, v11, v34 :: v_dual_add_f32 v8, v8, v9
	v_dual_add_f32 v9, v28, v9 :: v_dual_fmac_f32 v64, 0x3ee1c552, v18
	v_fmamk_f32 v18, v42, 0xbf955555, v65
	v_fma_f32 v45, 0xbf3bfb3b, v77, -v45
	v_dual_sub_f32 v42, v33, v19 :: v_dual_add_f32 v19, v19, v33
	v_sub_f32_e32 v33, v34, v11
	v_dual_add_f32 v34, v13, v23 :: v_dual_sub_f32 v23, v31, v20
	v_add_f32_e32 v35, v44, v18
	v_add_f32_e32 v37, v66, v18
	;; [unrolled: 1-line block ×3, first 2 shown]
	v_dual_sub_f32 v11, v21, v40 :: v_dual_sub_f32 v40, v27, v63
	v_add_f32_e32 v27, v63, v27
	v_add_f32_e32 v45, v14, v32
	;; [unrolled: 1-line block ×3, first 2 shown]
	v_sub_f32_e32 v13, v16, v48
	v_dual_add_f32 v21, v26, v5 :: v_dual_add_f32 v20, v20, v31
	v_sub_f32_e32 v5, v5, v26
	v_lshl_add_u32 v26, v0, 2, 0
	v_dual_sub_f32 v31, v32, v14 :: v_dual_sub_f32 v14, v25, v64
	v_add_f32_e32 v16, v64, v25
	v_sub_f32_e32 v46, v35, v67
	v_add_f32_e32 v35, v67, v35
	v_dual_sub_f32 v25, v36, v15 :: v_dual_sub_f32 v44, v22, v17
	v_dual_add_f32 v32, v17, v22 :: v_dual_add_f32 v15, v15, v36
	v_dual_add_f32 v17, v68, v8 :: v_dual_add_f32 v22, v29, v9
	v_sub_f32_e32 v9, v9, v29
	v_add_f32_e32 v48, v12, v37
	v_dual_sub_f32 v36, v37, v12 :: v_dual_add_nc_u32 v37, 0x1800, v49
	v_add_f32_e32 v29, v10, v18
	ds_store_2addr_b32 v1, v6, v28 offset1:91
	ds_store_2addr_b32 v51, v39, v42 offset0:54 offset1:145
	ds_store_2addr_b32 v56, v19, v11 offset0:108 offset1:199
	;; [unrolled: 1-line block ×4, first 2 shown]
	v_add_nc_u32_e32 v28, 0x1600, v49
	v_sub_f32_e32 v8, v8, v68
	ds_store_2addr_b32 v55, v23, v20 offset0:142 offset1:233
	ds_store_2addr_b32 v54, v5, v14 offset0:68 offset1:159
	;; [unrolled: 1-line block ×5, first 2 shown]
	ds_store_b32 v49, v8 offset:7280
	v_add_nc_u32_e32 v14, 0x400, v26
	v_sub_f32_e32 v38, v30, v47
	v_add_f32_e32 v30, v47, v30
	v_sub_f32_e32 v47, v18, v10
	global_wb scope:SCOPE_SE
	s_wait_dscnt 0x0
	s_barrier_signal -1
	s_barrier_wait -1
	global_inv scope:SCOPE_SE
	ds_load_2addr_b32 v[4:5], v1 offset1:91
	ds_load_2addr_b32 v[20:21], v52 offset0:34 offset1:125
	ds_load_2addr_b32 v[8:9], v58 offset0:122 offset1:213
	;; [unrolled: 1-line block ×9, first 2 shown]
	ds_load_b32 v25, v1 offset:7280
	global_wb scope:SCOPE_SE
	s_wait_dscnt 0x0
	s_barrier_signal -1
	s_barrier_wait -1
	global_inv scope:SCOPE_SE
	ds_store_2addr_b32 v1, v70, v38 offset1:91
	ds_store_2addr_b32 v51, v41, v43 offset0:54 offset1:145
	ds_store_2addr_b32 v56, v33, v34 offset0:108 offset1:199
	;; [unrolled: 1-line block ×9, first 2 shown]
	ds_store_b32 v49, v35 offset:7280
	global_wb scope:SCOPE_SE
	s_wait_dscnt 0x0
	s_barrier_signal -1
	s_barrier_wait -1
	global_inv scope:SCOPE_SE
	s_and_saveexec_b32 s0, vcc_lo
	s_cbranch_execz .LBB0_19
; %bb.18:
	v_dual_mov_b32 v56, 0 :: v_dual_add_nc_u32 v59, 0x222, v0
	v_lshlrev_b32_e32 v43, 1, v0
	s_delay_alu instid0(VALU_DEP_2) | instskip(SKIP_1) | instid1(VALU_DEP_2)
	v_dual_mov_b32 v44, v56 :: v_dual_lshlrev_b32 v55, 1, v59
	v_mul_hi_u32 v67, 0x9b876f53, v59
	v_lshlrev_b64_e32 v[27:28], 3, v[55:56]
	s_delay_alu instid0(VALU_DEP_3) | instskip(NEXT) | instid1(VALU_DEP_2)
	v_lshlrev_b64_e32 v[29:30], 3, v[43:44]
	v_add_co_u32 v27, vcc_lo, s4, v27
	s_wait_alu 0xfffd
	s_delay_alu instid0(VALU_DEP_3) | instskip(NEXT) | instid1(VALU_DEP_3)
	v_add_co_ci_u32_e32 v28, vcc_lo, s5, v28, vcc_lo
	v_add_co_u32 v31, vcc_lo, s4, v29
	s_wait_alu 0xfffd
	v_add_co_ci_u32_e32 v32, vcc_lo, s5, v30, vcc_lo
	s_clause 0x1
	global_load_b128 v[27:30], v[27:28], off offset:4992
	global_load_b128 v[31:34], v[31:32], off offset:4992
	v_add_nc_u32_e32 v57, 0x1c7, v0
	ds_load_b32 v77, v1 offset:7280
	v_add_nc_u32_e32 v62, 0x1800, v1
	v_add_nc_u32_e32 v71, 0xa00, v1
	v_lshlrev_b32_e32 v55, 1, v57
	v_mul_hi_u32 v61, 0x9b876f53, v57
	s_delay_alu instid0(VALU_DEP_2) | instskip(SKIP_1) | instid1(VALU_DEP_3)
	v_lshlrev_b64_e32 v[35:36], 3, v[55:56]
	v_add_nc_u32_e32 v55, 0x2d8, v43
	v_sub_nc_u32_e32 v60, v57, v61
	ds_load_2addr_b32 v[57:58], v1 offset1:91
	v_add_co_u32 v35, vcc_lo, s4, v35
	s_wait_alu 0xfffd
	v_add_co_ci_u32_e32 v36, vcc_lo, s5, v36, vcc_lo
	v_lshlrev_b64_e32 v[39:40], 3, v[55:56]
	v_add_nc_u32_e32 v55, 0x222, v43
	v_lshrrev_b32_e32 v63, 1, v60
	global_load_b128 v[35:38], v[35:36], off offset:4992
	v_lshlrev_b64_e32 v[43:44], 3, v[55:56]
	v_lshlrev_b32_e32 v55, 1, v24
	v_add_co_u32 v39, vcc_lo, s4, v39
	s_wait_alu 0xfffd
	v_add_co_ci_u32_e32 v40, vcc_lo, s5, v40, vcc_lo
	s_delay_alu instid0(VALU_DEP_3) | instskip(SKIP_4) | instid1(VALU_DEP_4)
	v_lshlrev_b64_e32 v[47:48], 3, v[55:56]
	v_add_co_u32 v43, vcc_lo, s4, v43
	s_wait_alu 0xfffd
	v_add_co_ci_u32_e32 v44, vcc_lo, s5, v44, vcc_lo
	v_lshlrev_b32_e32 v55, 1, v50
	v_add_co_u32 v47, vcc_lo, s4, v47
	s_wait_alu 0xfffd
	v_add_co_ci_u32_e32 v48, vcc_lo, s5, v48, vcc_lo
	s_clause 0x1
	global_load_b128 v[39:42], v[39:40], off offset:4992
	global_load_b128 v[43:46], v[43:44], off offset:4992
	v_add_nc_u32_e32 v24, 0x800, v1
	global_load_b128 v[51:54], v[47:48], off offset:4992
	v_lshlrev_b64_e32 v[47:48], 3, v[55:56]
	v_add_nc_u32_e32 v55, 0x1000, v1
	v_add_nc_u32_e32 v65, 0xc00, v1
	;; [unrolled: 1-line block ×5, first 2 shown]
	v_add_co_u32 v47, vcc_lo, s4, v47
	s_wait_alu 0xfffd
	v_add_co_ci_u32_e32 v48, vcc_lo, s5, v48, vcc_lo
	v_sub_nc_u32_e32 v1, v59, v67
	v_add_co_u32 v78, vcc_lo, s8, v2
	global_load_b128 v[47:50], v[47:48], off offset:4992
	s_wait_alu 0xfffd
	v_add_co_ci_u32_e32 v79, vcc_lo, s9, v3, vcc_lo
	ds_load_2addr_b32 v[2:3], v24 offset0:34 offset1:125
	ds_load_2addr_b32 v[59:60], v55 offset0:68 offset1:159
	v_add_nc_u32_e32 v24, v63, v61
	v_lshrrev_b32_e32 v1, 1, v1
	v_add_nc_u32_e32 v26, 0x400, v26
	ds_load_2addr_b32 v[61:62], v62 offset0:102 offset1:193
	ds_load_2addr_b32 v[63:64], v26 offset0:108 offset1:199
	ds_load_2addr_b32 v[65:66], v65 offset0:142 offset1:233
	v_lshrrev_b32_e32 v24, 9, v24
	v_dual_mov_b32 v1, v56 :: v_dual_add_nc_u32 v26, v1, v67
	s_delay_alu instid0(VALU_DEP_2) | instskip(NEXT) | instid1(VALU_DEP_2)
	v_mul_u32_u24_e32 v55, 0x4fa, v24
	v_lshrrev_b32_e32 v24, 9, v26
	s_delay_alu instid0(VALU_DEP_3) | instskip(NEXT) | instid1(VALU_DEP_3)
	v_lshlrev_b64_e32 v[0:1], 3, v[0:1]
	v_lshlrev_b64_e32 v[75:76], 3, v[55:56]
	s_delay_alu instid0(VALU_DEP_3) | instskip(NEXT) | instid1(VALU_DEP_3)
	v_mul_u32_u24_e32 v55, 0x4fa, v24
	v_add_co_u32 v0, vcc_lo, v78, v0
	s_wait_alu 0xfffd
	s_delay_alu instid0(VALU_DEP_4) | instskip(NEXT) | instid1(VALU_DEP_3)
	v_add_co_ci_u32_e32 v1, vcc_lo, v79, v1, vcc_lo
	v_lshlrev_b64_e32 v[55:56], 3, v[55:56]
	s_delay_alu instid0(VALU_DEP_3) | instskip(SKIP_1) | instid1(VALU_DEP_3)
	v_add_co_u32 v75, vcc_lo, v0, v75
	s_wait_alu 0xfffd
	v_add_co_ci_u32_e32 v76, vcc_lo, v1, v76, vcc_lo
	s_delay_alu instid0(VALU_DEP_3)
	v_add_co_u32 v55, vcc_lo, v0, v55
	s_wait_alu 0xfffd
	v_add_co_ci_u32_e32 v56, vcc_lo, v1, v56, vcc_lo
	s_wait_loadcnt 0x6
	v_mul_f32_e32 v24, v23, v28
	v_mul_f32_e32 v26, v25, v30
	s_wait_dscnt 0x6
	v_mul_f32_e32 v30, v77, v30
	s_wait_dscnt 0x3
	v_mul_f32_e32 v28, v60, v28
	s_wait_loadcnt 0x5
	v_mul_f32_e32 v78, v3, v32
	v_mul_f32_e32 v32, v21, v32
	v_fmac_f32_e32 v24, v60, v27
	v_fmac_f32_e32 v26, v77, v29
	v_fma_f32 v25, v25, v29, -v30
	v_fma_f32 v23, v23, v27, -v28
	v_fmac_f32_e32 v32, v31, v3
	v_fma_f32 v21, v21, v31, -v78
	s_delay_alu instid0(VALU_DEP_3)
	v_sub_f32_e32 v31, v23, v25
	s_wait_loadcnt 0x4
	v_mul_f32_e32 v29, v22, v36
	v_mul_f32_e32 v27, v59, v36
	;; [unrolled: 1-line block ×3, first 2 shown]
	ds_load_2addr_b32 v[67:68], v68 offset0:48 offset1:139
	ds_load_2addr_b32 v[69:70], v69 offset0:54 offset1:145
	s_wait_dscnt 0x4
	v_dual_mul_f32 v28, v62, v38 :: v_dual_fmac_f32 v29, v35, v59
	v_sub_f32_e32 v36, v24, v26
	ds_load_2addr_b32 v[71:72], v71 offset0:88 offset1:179
	ds_load_2addr_b32 v[73:74], v73 offset0:122 offset1:213
	v_fma_f32 v22, v22, v35, -v27
	v_fma_f32 v27, v19, v37, -v28
	v_fmac_f32_e32 v30, v37, v62
	v_dual_add_f32 v3, v24, v26 :: v_dual_add_f32 v24, v2, v24
	s_delay_alu instid0(VALU_DEP_1) | instskip(SKIP_4) | instid1(VALU_DEP_3)
	v_fma_f32 v3, -0.5, v3, v2
	s_wait_loadcnt_dscnt 0x304
	v_dual_mul_f32 v28, v66, v40 :: v_dual_mul_f32 v35, v61, v42
	v_dual_mul_f32 v37, v17, v40 :: v_dual_mul_f32 v38, v18, v42
	v_add_f32_e32 v77, v15, v22
	v_fma_f32 v78, v17, v39, -v28
	s_delay_alu instid0(VALU_DEP_4) | instskip(NEXT) | instid1(VALU_DEP_4)
	v_fma_f32 v35, v18, v41, -v35
	v_fmac_f32_e32 v37, v39, v66
	s_wait_dscnt 0x0
	v_mul_f32_e32 v79, v73, v34
	v_mul_f32_e32 v34, v8, v34
	v_fmac_f32_e32 v38, v41, v61
	s_wait_loadcnt 0x2
	v_mul_f32_e32 v39, v65, v44
	v_mul_f32_e32 v44, v16, v44
	v_fma_f32 v8, v8, v33, -v79
	v_fmac_f32_e32 v34, v33, v73
	v_add_f32_e32 v33, v23, v25
	s_delay_alu instid0(VALU_DEP_3) | instskip(NEXT) | instid1(VALU_DEP_3)
	v_dual_add_f32 v23, v20, v23 :: v_dual_sub_f32 v40, v21, v8
	v_dual_add_f32 v42, v32, v34 :: v_dual_add_f32 v59, v21, v8
	v_sub_f32_e32 v60, v32, v34
	v_add_f32_e32 v21, v4, v21
	v_add_f32_e32 v32, v32, v57
	v_fma_f32 v2, -0.5, v33, v20
	v_add_f32_e32 v19, v23, v25
	v_dual_add_f32 v25, v29, v30 :: v_dual_add_f32 v62, v22, v27
	v_sub_f32_e32 v73, v29, v30
	v_mul_f32_e32 v41, v68, v46
	v_dual_mul_f32 v46, v13, v46 :: v_dual_fmamk_f32 v23, v36, 0x3f5db3d7, v2
	v_dual_add_f32 v20, v24, v26 :: v_dual_add_f32 v29, v29, v64
	v_sub_f32_e32 v33, v22, v27
	v_fma_f32 v18, -0.5, v42, v57
	v_fma_f32 v17, -0.5, v59, v4
	v_add_f32_e32 v22, v34, v32
	v_dual_add_f32 v21, v21, v8 :: v_dual_add_f32 v28, v30, v29
	v_fmamk_f32 v24, v31, 0xbf5db3d7, v3
	v_dual_fmac_f32 v3, 0x3f5db3d7, v31 :: v_dual_add_f32 v8, v37, v38
	v_dual_fmac_f32 v2, 0xbf5db3d7, v36 :: v_dual_add_f32 v27, v77, v27
	v_fma_f32 v26, -0.5, v25, v64
	v_fma_f32 v25, -0.5, v62, v15
	v_sub_f32_e32 v4, v78, v35
	v_dual_add_f32 v31, v78, v35 :: v_dual_sub_f32 v34, v37, v38
	v_dual_add_f32 v36, v37, v63 :: v_dual_add_f32 v37, v14, v78
	v_fma_f32 v39, v16, v43, -v39
	v_fma_f32 v41, v13, v45, -v41
	v_dual_fmac_f32 v44, v43, v65 :: v_dual_fmamk_f32 v15, v60, 0xbf5db3d7, v17
	v_fmac_f32_e32 v46, v45, v68
	s_wait_loadcnt 0x1
	v_dual_mul_f32 v42, v72, v52 :: v_dual_fmamk_f32 v29, v73, 0xbf5db3d7, v25
	v_mul_f32_e32 v43, v67, v54
	v_dual_mul_f32 v45, v11, v52 :: v_dual_mul_f32 v52, v12, v54
	v_dual_fmamk_f32 v16, v40, 0x3f5db3d7, v18 :: v_dual_fmac_f32 v17, 0x3f5db3d7, v60
	v_dual_fmac_f32 v18, 0xbf5db3d7, v40 :: v_dual_add_f32 v13, v37, v35
	v_dual_fmamk_f32 v30, v33, 0x3f5db3d7, v26 :: v_dual_sub_f32 v35, v39, v41
	v_dual_fmac_f32 v26, 0xbf5db3d7, v33 :: v_dual_add_f32 v37, v44, v70
	v_fmac_f32_e32 v25, 0x3f5db3d7, v73
	v_fma_f32 v32, -0.5, v8, v63
	v_fma_f32 v31, -0.5, v31, v14
	v_dual_add_f32 v14, v38, v36 :: v_dual_add_f32 v33, v39, v41
	v_dual_add_f32 v8, v44, v46 :: v_dual_fmac_f32 v45, v51, v72
	v_sub_f32_e32 v36, v44, v46
	v_add_f32_e32 v38, v7, v39
	v_fma_f32 v39, v11, v51, -v42
	v_fma_f32 v40, v12, v53, -v43
	s_wait_loadcnt 0x0
	v_dual_mul_f32 v43, v74, v50 :: v_dual_fmac_f32 v52, v53, v67
	v_mul_f32_e32 v42, v71, v48
	v_mul_f32_e32 v44, v10, v48
	v_dual_mul_f32 v48, v9, v50 :: v_dual_fmamk_f32 v11, v34, 0xbf5db3d7, v31
	v_dual_fmac_f32 v31, 0x3f5db3d7, v34 :: v_dual_fmamk_f32 v12, v4, 0x3f5db3d7, v32
	v_fma_f32 v8, -0.5, v8, v70
	v_fma_f32 v7, -0.5, v33, v7
	v_fmac_f32_e32 v32, 0xbf5db3d7, v4
	v_add_f32_e32 v34, v46, v37
	v_add_f32_e32 v33, v38, v41
	v_sub_f32_e32 v41, v45, v52
	v_add_f32_e32 v37, v45, v52
	v_add_f32_e32 v45, v45, v69
	v_fma_f32 v42, v10, v47, -v42
	v_add_f32_e32 v38, v39, v40
	v_fma_f32 v43, v9, v49, -v43
	v_dual_sub_f32 v4, v39, v40 :: v_dual_add_f32 v39, v6, v39
	v_fmac_f32_e32 v44, v47, v71
	v_dual_fmac_f32 v48, v49, v74 :: v_dual_fmamk_f32 v9, v36, 0xbf5db3d7, v7
	v_fmac_f32_e32 v7, 0x3f5db3d7, v36
	v_fma_f32 v36, -0.5, v37, v69
	v_add_f32_e32 v37, v39, v40
	s_delay_alu instid0(VALU_DEP_4) | instskip(SKIP_4) | instid1(VALU_DEP_4)
	v_dual_fmamk_f32 v10, v35, 0x3f5db3d7, v8 :: v_dual_sub_f32 v47, v44, v48
	v_add_f32_e32 v46, v42, v43
	v_dual_fmac_f32 v8, 0xbf5db3d7, v35 :: v_dual_add_f32 v49, v5, v42
	v_fma_f32 v35, -0.5, v38, v6
	v_add_f32_e32 v6, v44, v48
	v_fma_f32 v5, -0.5, v46, v5
	v_add_f32_e32 v44, v44, v58
	v_dual_add_f32 v38, v52, v45 :: v_dual_sub_f32 v45, v42, v43
	v_fmamk_f32 v39, v41, 0xbf5db3d7, v35
	v_fmac_f32_e32 v35, 0x3f5db3d7, v41
	v_add_f32_e32 v41, v49, v43
	v_fma_f32 v6, -0.5, v6, v58
	global_store_b64 v[0:1], v[7:8], off offset:7280
	v_fmamk_f32 v7, v47, 0xbf5db3d7, v5
	v_dual_fmac_f32 v5, 0x3f5db3d7, v47 :: v_dual_add_f32 v42, v48, v44
	v_fmamk_f32 v40, v4, 0x3f5db3d7, v36
	v_fmac_f32_e32 v36, 0xbf5db3d7, v4
	v_fmamk_f32 v8, v45, 0x3f5db3d7, v6
	v_fmac_f32_e32 v6, 0xbf5db3d7, v45
	s_clause 0x13
	global_store_b64 v[0:1], v[21:22], off
	global_store_b64 v[0:1], v[41:42], off offset:728
	global_store_b64 v[0:1], v[37:38], off offset:1456
	;; [unrolled: 1-line block ×19, first 2 shown]
.LBB0_19:
	s_nop 0
	s_sendmsg sendmsg(MSG_DEALLOC_VGPRS)
	s_endpgm
	.section	.rodata,"a",@progbits
	.p2align	6, 0x0
	.amdhsa_kernel fft_rtc_fwd_len1911_factors_13_7_7_3_wgs_91_tpt_91_halfLds_sp_ip_CI_unitstride_sbrr_dirReg
		.amdhsa_group_segment_fixed_size 0
		.amdhsa_private_segment_fixed_size 0
		.amdhsa_kernarg_size 88
		.amdhsa_user_sgpr_count 2
		.amdhsa_user_sgpr_dispatch_ptr 0
		.amdhsa_user_sgpr_queue_ptr 0
		.amdhsa_user_sgpr_kernarg_segment_ptr 1
		.amdhsa_user_sgpr_dispatch_id 0
		.amdhsa_user_sgpr_private_segment_size 0
		.amdhsa_wavefront_size32 1
		.amdhsa_uses_dynamic_stack 0
		.amdhsa_enable_private_segment 0
		.amdhsa_system_sgpr_workgroup_id_x 1
		.amdhsa_system_sgpr_workgroup_id_y 0
		.amdhsa_system_sgpr_workgroup_id_z 0
		.amdhsa_system_sgpr_workgroup_info 0
		.amdhsa_system_vgpr_workitem_id 0
		.amdhsa_next_free_vgpr 92
		.amdhsa_next_free_sgpr 32
		.amdhsa_reserve_vcc 1
		.amdhsa_float_round_mode_32 0
		.amdhsa_float_round_mode_16_64 0
		.amdhsa_float_denorm_mode_32 3
		.amdhsa_float_denorm_mode_16_64 3
		.amdhsa_fp16_overflow 0
		.amdhsa_workgroup_processor_mode 1
		.amdhsa_memory_ordered 1
		.amdhsa_forward_progress 0
		.amdhsa_round_robin_scheduling 0
		.amdhsa_exception_fp_ieee_invalid_op 0
		.amdhsa_exception_fp_denorm_src 0
		.amdhsa_exception_fp_ieee_div_zero 0
		.amdhsa_exception_fp_ieee_overflow 0
		.amdhsa_exception_fp_ieee_underflow 0
		.amdhsa_exception_fp_ieee_inexact 0
		.amdhsa_exception_int_div_zero 0
	.end_amdhsa_kernel
	.text
.Lfunc_end0:
	.size	fft_rtc_fwd_len1911_factors_13_7_7_3_wgs_91_tpt_91_halfLds_sp_ip_CI_unitstride_sbrr_dirReg, .Lfunc_end0-fft_rtc_fwd_len1911_factors_13_7_7_3_wgs_91_tpt_91_halfLds_sp_ip_CI_unitstride_sbrr_dirReg
                                        ; -- End function
	.section	.AMDGPU.csdata,"",@progbits
; Kernel info:
; codeLenInByte = 15348
; NumSgprs: 34
; NumVgprs: 92
; ScratchSize: 0
; MemoryBound: 0
; FloatMode: 240
; IeeeMode: 1
; LDSByteSize: 0 bytes/workgroup (compile time only)
; SGPRBlocks: 4
; VGPRBlocks: 11
; NumSGPRsForWavesPerEU: 34
; NumVGPRsForWavesPerEU: 92
; Occupancy: 16
; WaveLimiterHint : 1
; COMPUTE_PGM_RSRC2:SCRATCH_EN: 0
; COMPUTE_PGM_RSRC2:USER_SGPR: 2
; COMPUTE_PGM_RSRC2:TRAP_HANDLER: 0
; COMPUTE_PGM_RSRC2:TGID_X_EN: 1
; COMPUTE_PGM_RSRC2:TGID_Y_EN: 0
; COMPUTE_PGM_RSRC2:TGID_Z_EN: 0
; COMPUTE_PGM_RSRC2:TIDIG_COMP_CNT: 0
	.text
	.p2alignl 7, 3214868480
	.fill 96, 4, 3214868480
	.type	__hip_cuid_1a71d7b61ae10afa,@object ; @__hip_cuid_1a71d7b61ae10afa
	.section	.bss,"aw",@nobits
	.globl	__hip_cuid_1a71d7b61ae10afa
__hip_cuid_1a71d7b61ae10afa:
	.byte	0                               ; 0x0
	.size	__hip_cuid_1a71d7b61ae10afa, 1

	.ident	"AMD clang version 19.0.0git (https://github.com/RadeonOpenCompute/llvm-project roc-6.4.0 25133 c7fe45cf4b819c5991fe208aaa96edf142730f1d)"
	.section	".note.GNU-stack","",@progbits
	.addrsig
	.addrsig_sym __hip_cuid_1a71d7b61ae10afa
	.amdgpu_metadata
---
amdhsa.kernels:
  - .args:
      - .actual_access:  read_only
        .address_space:  global
        .offset:         0
        .size:           8
        .value_kind:     global_buffer
      - .offset:         8
        .size:           8
        .value_kind:     by_value
      - .actual_access:  read_only
        .address_space:  global
        .offset:         16
        .size:           8
        .value_kind:     global_buffer
      - .actual_access:  read_only
        .address_space:  global
        .offset:         24
        .size:           8
        .value_kind:     global_buffer
      - .offset:         32
        .size:           8
        .value_kind:     by_value
      - .actual_access:  read_only
        .address_space:  global
        .offset:         40
        .size:           8
        .value_kind:     global_buffer
      - .actual_access:  read_only
        .address_space:  global
        .offset:         48
        .size:           8
        .value_kind:     global_buffer
      - .offset:         56
        .size:           4
        .value_kind:     by_value
      - .actual_access:  read_only
        .address_space:  global
        .offset:         64
        .size:           8
        .value_kind:     global_buffer
      - .actual_access:  read_only
        .address_space:  global
        .offset:         72
        .size:           8
        .value_kind:     global_buffer
      - .address_space:  global
        .offset:         80
        .size:           8
        .value_kind:     global_buffer
    .group_segment_fixed_size: 0
    .kernarg_segment_align: 8
    .kernarg_segment_size: 88
    .language:       OpenCL C
    .language_version:
      - 2
      - 0
    .max_flat_workgroup_size: 91
    .name:           fft_rtc_fwd_len1911_factors_13_7_7_3_wgs_91_tpt_91_halfLds_sp_ip_CI_unitstride_sbrr_dirReg
    .private_segment_fixed_size: 0
    .sgpr_count:     34
    .sgpr_spill_count: 0
    .symbol:         fft_rtc_fwd_len1911_factors_13_7_7_3_wgs_91_tpt_91_halfLds_sp_ip_CI_unitstride_sbrr_dirReg.kd
    .uniform_work_group_size: 1
    .uses_dynamic_stack: false
    .vgpr_count:     92
    .vgpr_spill_count: 0
    .wavefront_size: 32
    .workgroup_processor_mode: 1
amdhsa.target:   amdgcn-amd-amdhsa--gfx1201
amdhsa.version:
  - 1
  - 2
...

	.end_amdgpu_metadata
